;; amdgpu-corpus repo=ROCm/rocFFT kind=compiled arch=gfx1201 opt=O3
	.text
	.amdgcn_target "amdgcn-amd-amdhsa--gfx1201"
	.amdhsa_code_object_version 6
	.protected	fft_rtc_fwd_len952_factors_17_4_2_7_wgs_204_tpt_68_halfLds_half_op_CI_CI_sbrr_dirReg ; -- Begin function fft_rtc_fwd_len952_factors_17_4_2_7_wgs_204_tpt_68_halfLds_half_op_CI_CI_sbrr_dirReg
	.globl	fft_rtc_fwd_len952_factors_17_4_2_7_wgs_204_tpt_68_halfLds_half_op_CI_CI_sbrr_dirReg
	.p2align	8
	.type	fft_rtc_fwd_len952_factors_17_4_2_7_wgs_204_tpt_68_halfLds_half_op_CI_CI_sbrr_dirReg,@function
fft_rtc_fwd_len952_factors_17_4_2_7_wgs_204_tpt_68_halfLds_half_op_CI_CI_sbrr_dirReg: ; @fft_rtc_fwd_len952_factors_17_4_2_7_wgs_204_tpt_68_halfLds_half_op_CI_CI_sbrr_dirReg
; %bb.0:
	s_clause 0x1
	s_load_b128 s[12:15], s[0:1], 0x18
	s_load_b128 s[8:11], s[0:1], 0x0
	v_mul_u32_u24_e32 v1, 0x3c4, v0
	v_mov_b32_e32 v5, 0
	v_mov_b32_e32 v3, 0
	v_mov_b32_e32 v4, 0
	s_load_b128 s[4:7], s[0:1], 0x58
	s_wait_kmcnt 0x0
	s_load_b64 s[18:19], s[12:13], 0x0
	s_load_b64 s[16:17], s[14:15], 0x0
	v_lshrrev_b32_e32 v1, 16, v1
	v_cmp_lt_u64_e64 s2, s[10:11], 2
	v_dual_mov_b32 v17, v4 :: v_dual_mov_b32 v16, v3
	s_delay_alu instid0(VALU_DEP_3) | instskip(SKIP_1) | instid1(VALU_DEP_4)
	v_mad_co_u64_u32 v[1:2], null, ttmp9, 3, v[1:2]
	v_mov_b32_e32 v2, v5
	s_and_b32 vcc_lo, exec_lo, s2
	s_delay_alu instid0(VALU_DEP_1)
	v_dual_mov_b32 v21, v2 :: v_dual_mov_b32 v20, v1
	s_cbranch_vccnz .LBB0_8
; %bb.1:
	s_load_b64 s[2:3], s[0:1], 0x10
	v_dual_mov_b32 v3, 0 :: v_dual_mov_b32 v8, v2
	v_dual_mov_b32 v4, 0 :: v_dual_mov_b32 v7, v1
	s_add_nc_u64 s[20:21], s[14:15], 8
	s_add_nc_u64 s[22:23], s[12:13], 8
	s_mov_b64 s[24:25], 1
	s_delay_alu instid0(VALU_DEP_1)
	v_dual_mov_b32 v17, v4 :: v_dual_mov_b32 v16, v3
	s_wait_kmcnt 0x0
	s_add_nc_u64 s[26:27], s[2:3], 8
	s_mov_b32 s3, 0
.LBB0_2:                                ; =>This Inner Loop Header: Depth=1
	s_load_b64 s[28:29], s[26:27], 0x0
                                        ; implicit-def: $vgpr20_vgpr21
	s_mov_b32 s2, exec_lo
	s_wait_kmcnt 0x0
	v_or_b32_e32 v6, s29, v8
	s_delay_alu instid0(VALU_DEP_1)
	v_cmpx_ne_u64_e32 0, v[5:6]
	s_wait_alu 0xfffe
	s_xor_b32 s30, exec_lo, s2
	s_cbranch_execz .LBB0_4
; %bb.3:                                ;   in Loop: Header=BB0_2 Depth=1
	s_cvt_f32_u32 s2, s28
	s_cvt_f32_u32 s31, s29
	s_sub_nc_u64 s[36:37], 0, s[28:29]
	s_wait_alu 0xfffe
	s_delay_alu instid0(SALU_CYCLE_1) | instskip(SKIP_1) | instid1(SALU_CYCLE_2)
	s_fmamk_f32 s2, s31, 0x4f800000, s2
	s_wait_alu 0xfffe
	v_s_rcp_f32 s2, s2
	s_delay_alu instid0(TRANS32_DEP_1) | instskip(SKIP_1) | instid1(SALU_CYCLE_2)
	s_mul_f32 s2, s2, 0x5f7ffffc
	s_wait_alu 0xfffe
	s_mul_f32 s31, s2, 0x2f800000
	s_wait_alu 0xfffe
	s_delay_alu instid0(SALU_CYCLE_2) | instskip(SKIP_1) | instid1(SALU_CYCLE_2)
	s_trunc_f32 s31, s31
	s_wait_alu 0xfffe
	s_fmamk_f32 s2, s31, 0xcf800000, s2
	s_cvt_u32_f32 s35, s31
	s_wait_alu 0xfffe
	s_delay_alu instid0(SALU_CYCLE_1) | instskip(SKIP_1) | instid1(SALU_CYCLE_2)
	s_cvt_u32_f32 s34, s2
	s_wait_alu 0xfffe
	s_mul_u64 s[38:39], s[36:37], s[34:35]
	s_wait_alu 0xfffe
	s_mul_hi_u32 s41, s34, s39
	s_mul_i32 s40, s34, s39
	s_mul_hi_u32 s2, s34, s38
	s_mul_i32 s33, s35, s38
	s_wait_alu 0xfffe
	s_add_nc_u64 s[40:41], s[2:3], s[40:41]
	s_mul_hi_u32 s31, s35, s38
	s_mul_hi_u32 s42, s35, s39
	s_add_co_u32 s2, s40, s33
	s_wait_alu 0xfffe
	s_add_co_ci_u32 s2, s41, s31
	s_mul_i32 s38, s35, s39
	s_add_co_ci_u32 s39, s42, 0
	s_wait_alu 0xfffe
	s_add_nc_u64 s[38:39], s[2:3], s[38:39]
	s_wait_alu 0xfffe
	v_add_co_u32 v2, s2, s34, s38
	s_delay_alu instid0(VALU_DEP_1) | instskip(SKIP_1) | instid1(VALU_DEP_1)
	s_cmp_lg_u32 s2, 0
	s_add_co_ci_u32 s35, s35, s39
	v_readfirstlane_b32 s34, v2
	s_wait_alu 0xfffe
	s_delay_alu instid0(VALU_DEP_1)
	s_mul_u64 s[36:37], s[36:37], s[34:35]
	s_wait_alu 0xfffe
	s_mul_hi_u32 s39, s34, s37
	s_mul_i32 s38, s34, s37
	s_mul_hi_u32 s2, s34, s36
	s_mul_i32 s33, s35, s36
	s_wait_alu 0xfffe
	s_add_nc_u64 s[38:39], s[2:3], s[38:39]
	s_mul_hi_u32 s31, s35, s36
	s_mul_hi_u32 s34, s35, s37
	s_wait_alu 0xfffe
	s_add_co_u32 s2, s38, s33
	s_add_co_ci_u32 s2, s39, s31
	s_mul_i32 s36, s35, s37
	s_add_co_ci_u32 s37, s34, 0
	s_wait_alu 0xfffe
	s_add_nc_u64 s[36:37], s[2:3], s[36:37]
	s_wait_alu 0xfffe
	v_add_co_u32 v2, s2, v2, s36
	s_delay_alu instid0(VALU_DEP_1) | instskip(SKIP_1) | instid1(VALU_DEP_1)
	s_cmp_lg_u32 s2, 0
	s_add_co_ci_u32 s2, s35, s37
	v_mul_hi_u32 v6, v7, v2
	s_wait_alu 0xfffe
	v_mad_co_u64_u32 v[9:10], null, v7, s2, 0
	v_mad_co_u64_u32 v[11:12], null, v8, v2, 0
	;; [unrolled: 1-line block ×3, first 2 shown]
	s_delay_alu instid0(VALU_DEP_3) | instskip(SKIP_1) | instid1(VALU_DEP_4)
	v_add_co_u32 v2, vcc_lo, v6, v9
	s_wait_alu 0xfffd
	v_add_co_ci_u32_e32 v6, vcc_lo, 0, v10, vcc_lo
	s_delay_alu instid0(VALU_DEP_2) | instskip(SKIP_1) | instid1(VALU_DEP_2)
	v_add_co_u32 v2, vcc_lo, v2, v11
	s_wait_alu 0xfffd
	v_add_co_ci_u32_e32 v2, vcc_lo, v6, v12, vcc_lo
	s_wait_alu 0xfffd
	v_add_co_ci_u32_e32 v6, vcc_lo, 0, v14, vcc_lo
	s_delay_alu instid0(VALU_DEP_2) | instskip(SKIP_1) | instid1(VALU_DEP_2)
	v_add_co_u32 v2, vcc_lo, v2, v13
	s_wait_alu 0xfffd
	v_add_co_ci_u32_e32 v6, vcc_lo, 0, v6, vcc_lo
	s_delay_alu instid0(VALU_DEP_2) | instskip(SKIP_1) | instid1(VALU_DEP_3)
	v_mul_lo_u32 v11, s29, v2
	v_mad_co_u64_u32 v[9:10], null, s28, v2, 0
	v_mul_lo_u32 v12, s28, v6
	s_delay_alu instid0(VALU_DEP_2) | instskip(NEXT) | instid1(VALU_DEP_2)
	v_sub_co_u32 v9, vcc_lo, v7, v9
	v_add3_u32 v10, v10, v12, v11
	s_delay_alu instid0(VALU_DEP_1) | instskip(SKIP_1) | instid1(VALU_DEP_1)
	v_sub_nc_u32_e32 v11, v8, v10
	s_wait_alu 0xfffd
	v_subrev_co_ci_u32_e64 v11, s2, s29, v11, vcc_lo
	v_add_co_u32 v12, s2, v2, 2
	s_wait_alu 0xf1ff
	v_add_co_ci_u32_e64 v13, s2, 0, v6, s2
	v_sub_co_u32 v14, s2, v9, s28
	v_sub_co_ci_u32_e32 v10, vcc_lo, v8, v10, vcc_lo
	s_wait_alu 0xf1ff
	v_subrev_co_ci_u32_e64 v11, s2, 0, v11, s2
	s_delay_alu instid0(VALU_DEP_3) | instskip(NEXT) | instid1(VALU_DEP_3)
	v_cmp_le_u32_e32 vcc_lo, s28, v14
	v_cmp_eq_u32_e64 s2, s29, v10
	s_wait_alu 0xfffd
	v_cndmask_b32_e64 v14, 0, -1, vcc_lo
	v_cmp_le_u32_e32 vcc_lo, s29, v11
	s_wait_alu 0xfffd
	v_cndmask_b32_e64 v15, 0, -1, vcc_lo
	v_cmp_le_u32_e32 vcc_lo, s28, v9
	;; [unrolled: 3-line block ×3, first 2 shown]
	s_wait_alu 0xfffd
	v_cndmask_b32_e64 v18, 0, -1, vcc_lo
	v_cmp_eq_u32_e32 vcc_lo, s29, v11
	s_wait_alu 0xf1ff
	s_delay_alu instid0(VALU_DEP_2)
	v_cndmask_b32_e64 v9, v18, v9, s2
	s_wait_alu 0xfffd
	v_cndmask_b32_e32 v11, v15, v14, vcc_lo
	v_add_co_u32 v14, vcc_lo, v2, 1
	s_wait_alu 0xfffd
	v_add_co_ci_u32_e32 v15, vcc_lo, 0, v6, vcc_lo
	s_delay_alu instid0(VALU_DEP_3) | instskip(SKIP_1) | instid1(VALU_DEP_2)
	v_cmp_ne_u32_e32 vcc_lo, 0, v11
	s_wait_alu 0xfffd
	v_dual_cndmask_b32 v10, v15, v13 :: v_dual_cndmask_b32 v11, v14, v12
	v_cmp_ne_u32_e32 vcc_lo, 0, v9
	s_wait_alu 0xfffd
	s_delay_alu instid0(VALU_DEP_2) | instskip(NEXT) | instid1(VALU_DEP_3)
	v_cndmask_b32_e32 v21, v6, v10, vcc_lo
	v_cndmask_b32_e32 v20, v2, v11, vcc_lo
.LBB0_4:                                ;   in Loop: Header=BB0_2 Depth=1
	s_wait_alu 0xfffe
	s_and_not1_saveexec_b32 s2, s30
	s_cbranch_execz .LBB0_6
; %bb.5:                                ;   in Loop: Header=BB0_2 Depth=1
	v_cvt_f32_u32_e32 v2, s28
	s_sub_co_i32 s30, 0, s28
	v_mov_b32_e32 v21, v5
	s_delay_alu instid0(VALU_DEP_2) | instskip(NEXT) | instid1(TRANS32_DEP_1)
	v_rcp_iflag_f32_e32 v2, v2
	v_mul_f32_e32 v2, 0x4f7ffffe, v2
	s_delay_alu instid0(VALU_DEP_1) | instskip(SKIP_1) | instid1(VALU_DEP_1)
	v_cvt_u32_f32_e32 v2, v2
	s_wait_alu 0xfffe
	v_mul_lo_u32 v6, s30, v2
	s_delay_alu instid0(VALU_DEP_1) | instskip(NEXT) | instid1(VALU_DEP_1)
	v_mul_hi_u32 v6, v2, v6
	v_add_nc_u32_e32 v2, v2, v6
	s_delay_alu instid0(VALU_DEP_1) | instskip(NEXT) | instid1(VALU_DEP_1)
	v_mul_hi_u32 v2, v7, v2
	v_mul_lo_u32 v6, v2, s28
	v_add_nc_u32_e32 v9, 1, v2
	s_delay_alu instid0(VALU_DEP_2) | instskip(NEXT) | instid1(VALU_DEP_1)
	v_sub_nc_u32_e32 v6, v7, v6
	v_subrev_nc_u32_e32 v10, s28, v6
	v_cmp_le_u32_e32 vcc_lo, s28, v6
	s_wait_alu 0xfffd
	s_delay_alu instid0(VALU_DEP_2) | instskip(SKIP_1) | instid1(VALU_DEP_2)
	v_cndmask_b32_e32 v6, v6, v10, vcc_lo
	v_cndmask_b32_e32 v2, v2, v9, vcc_lo
	v_cmp_le_u32_e32 vcc_lo, s28, v6
	s_delay_alu instid0(VALU_DEP_2) | instskip(SKIP_1) | instid1(VALU_DEP_1)
	v_add_nc_u32_e32 v9, 1, v2
	s_wait_alu 0xfffd
	v_cndmask_b32_e32 v20, v2, v9, vcc_lo
.LBB0_6:                                ;   in Loop: Header=BB0_2 Depth=1
	s_wait_alu 0xfffe
	s_or_b32 exec_lo, exec_lo, s2
	v_mul_lo_u32 v2, v21, s28
	s_delay_alu instid0(VALU_DEP_2)
	v_mul_lo_u32 v6, v20, s29
	s_load_b64 s[30:31], s[22:23], 0x0
	v_mad_co_u64_u32 v[9:10], null, v20, s28, 0
	s_load_b64 s[28:29], s[20:21], 0x0
	s_add_nc_u64 s[24:25], s[24:25], 1
	s_add_nc_u64 s[20:21], s[20:21], 8
	s_wait_alu 0xfffe
	v_cmp_ge_u64_e64 s2, s[24:25], s[10:11]
	s_add_nc_u64 s[22:23], s[22:23], 8
	s_add_nc_u64 s[26:27], s[26:27], 8
	v_add3_u32 v2, v10, v6, v2
	v_sub_co_u32 v6, vcc_lo, v7, v9
	s_wait_alu 0xfffd
	s_delay_alu instid0(VALU_DEP_2) | instskip(SKIP_2) | instid1(VALU_DEP_1)
	v_sub_co_ci_u32_e32 v2, vcc_lo, v8, v2, vcc_lo
	s_and_b32 vcc_lo, exec_lo, s2
	s_wait_kmcnt 0x0
	v_mul_lo_u32 v7, s30, v2
	v_mul_lo_u32 v8, s31, v6
	v_mad_co_u64_u32 v[3:4], null, s30, v6, v[3:4]
	v_mul_lo_u32 v2, s28, v2
	v_mul_lo_u32 v9, s29, v6
	v_mad_co_u64_u32 v[16:17], null, s28, v6, v[16:17]
	s_delay_alu instid0(VALU_DEP_4) | instskip(NEXT) | instid1(VALU_DEP_2)
	v_add3_u32 v4, v8, v4, v7
	v_add3_u32 v17, v9, v17, v2
	s_wait_alu 0xfffe
	s_cbranch_vccnz .LBB0_8
; %bb.7:                                ;   in Loop: Header=BB0_2 Depth=1
	v_dual_mov_b32 v7, v20 :: v_dual_mov_b32 v8, v21
	s_branch .LBB0_2
.LBB0_8:
	s_load_b64 s[0:1], s[0:1], 0x28
	v_mul_hi_u32 v2, 0x3c3c3c4, v0
	v_mov_b32_e32 v5, 0
	s_lshl_b64 s[2:3], s[10:11], 3
                                        ; implicit-def: $vgpr33
                                        ; implicit-def: $vgpr25
                                        ; implicit-def: $vgpr30
                                        ; implicit-def: $vgpr26
                                        ; implicit-def: $vgpr27
                                        ; implicit-def: $vgpr29
                                        ; implicit-def: $vgpr24
                                        ; implicit-def: $vgpr31
                                        ; implicit-def: $vgpr23
                                        ; implicit-def: $vgpr32
                                        ; implicit-def: $vgpr19
                                        ; implicit-def: $vgpr34
                                        ; implicit-def: $vgpr15
                                        ; implicit-def: $vgpr28
                                        ; implicit-def: $vgpr14
                                        ; implicit-def: $vgpr35
                                        ; implicit-def: $vgpr13
                                        ; implicit-def: $vgpr36
                                        ; implicit-def: $vgpr12
                                        ; implicit-def: $vgpr39
                                        ; implicit-def: $vgpr11
                                        ; implicit-def: $vgpr41
                                        ; implicit-def: $vgpr10
                                        ; implicit-def: $vgpr42
                                        ; implicit-def: $vgpr9
                                        ; implicit-def: $vgpr43
                                        ; implicit-def: $vgpr8
                                        ; implicit-def: $vgpr44
                                        ; implicit-def: $vgpr7
                                        ; implicit-def: $vgpr45
                                        ; implicit-def: $vgpr6
                                        ; implicit-def: $vgpr46
	s_delay_alu instid0(VALU_DEP_2) | instskip(NEXT) | instid1(VALU_DEP_1)
	v_mul_u32_u24_e32 v2, 0x44, v2
	v_sub_nc_u32_e32 v18, v0, v2
	v_mov_b32_e32 v0, 0
	s_wait_kmcnt 0x0
	v_cmp_gt_u64_e32 vcc_lo, s[0:1], v[20:21]
	s_delay_alu instid0(VALU_DEP_3) | instskip(NEXT) | instid1(VALU_DEP_1)
	v_cmp_gt_u32_e64 s0, 56, v18
	s_and_b32 s1, vcc_lo, s0
	s_wait_alu 0xfffe
	s_and_saveexec_b32 s10, s1
	s_cbranch_execz .LBB0_10
; %bb.9:
	s_add_nc_u64 s[12:13], s[12:13], s[2:3]
	v_mad_co_u64_u32 v[5:6], null, s18, v18, 0
	s_load_b64 s[12:13], s[12:13], 0x0
	v_add_nc_u32_e32 v15, 56, v18
	v_add_nc_u32_e32 v28, 0xa8, v18
	v_lshlrev_b64_e32 v[2:3], 2, v[3:4]
	v_add_nc_u32_e32 v33, 0x230, v18
	v_dual_mov_b32 v0, v6 :: v_dual_add_nc_u32 v39, 0x268, v18
	v_mad_co_u64_u32 v[7:8], null, s18, v15, 0
	v_add_nc_u32_e32 v19, 0x70, v18
	v_mad_co_u64_u32 v[11:12], null, s18, v28, 0
	s_delay_alu instid0(VALU_DEP_4)
	v_mad_co_u64_u32 v[22:23], null, s19, v18, v[0:1]
	v_mad_co_u64_u32 v[37:38], null, s18, v33, 0
	v_mov_b32_e32 v0, v8
	v_mad_co_u64_u32 v[9:10], null, s18, v19, 0
	v_add_nc_u32_e32 v29, 0xe0, v18
	s_wait_kmcnt 0x0
	v_mul_lo_u32 v6, s13, v20
	v_mul_lo_u32 v25, s12, v21
	v_mad_co_u64_u32 v[13:14], null, s12, v20, 0
	v_mov_b32_e32 v8, v12
	v_mov_b32_e32 v4, v10
	v_mad_co_u64_u32 v[23:24], null, s18, v29, 0
	s_delay_alu instid0(VALU_DEP_4) | instskip(SKIP_1) | instid1(VALU_DEP_4)
	v_add3_u32 v14, v14, v25, v6
	v_mad_co_u64_u32 v[25:26], null, s19, v15, v[0:1]
	v_mad_co_u64_u32 v[26:27], null, s19, v19, v[4:5]
	s_delay_alu instid0(VALU_DEP_3) | instskip(SKIP_3) | instid1(VALU_DEP_4)
	v_lshlrev_b64_e32 v[12:13], 2, v[13:14]
	v_dual_mov_b32 v6, v22 :: v_dual_add_nc_u32 v27, 0x188, v18
	v_mad_co_u64_u32 v[14:15], null, s19, v28, v[8:9]
	v_mov_b32_e32 v8, v25
	v_add_co_u32 v0, s1, s4, v12
	s_delay_alu instid0(VALU_DEP_4)
	v_lshlrev_b64_e32 v[4:5], 2, v[5:6]
	s_wait_alu 0xf1ff
	v_add_co_ci_u32_e64 v6, s1, s5, v13, s1
	v_mov_b32_e32 v10, v26
	v_add_co_u32 v19, s1, v0, v2
	v_dual_mov_b32 v0, v24 :: v_dual_add_nc_u32 v15, 0x118, v18
	s_wait_alu 0xf1ff
	v_add_co_ci_u32_e64 v30, s1, v6, v3, s1
	v_lshlrev_b64_e32 v[2:3], 2, v[7:8]
	v_lshlrev_b64_e32 v[6:7], 2, v[9:10]
	v_mov_b32_e32 v12, v14
	v_mad_co_u64_u32 v[8:9], null, s18, v15, 0
	v_mad_co_u64_u32 v[13:14], null, s19, v29, v[0:1]
	v_add_nc_u32_e32 v26, 0x150, v18
	s_delay_alu instid0(VALU_DEP_4)
	v_lshlrev_b64_e32 v[10:11], 2, v[11:12]
	v_add_co_u32 v4, s1, v19, v4
	v_mov_b32_e32 v0, v9
	s_wait_alu 0xf1ff
	v_add_co_ci_u32_e64 v5, s1, v30, v5, s1
	v_mov_b32_e32 v24, v13
	v_mad_co_u64_u32 v[12:13], null, s18, v26, 0
	v_mad_co_u64_u32 v[14:15], null, s19, v15, v[0:1]
	s_delay_alu instid0(VALU_DEP_3)
	v_lshlrev_b64_e32 v[22:23], 2, v[23:24]
	v_mad_co_u64_u32 v[24:25], null, s18, v27, 0
	v_add_co_u32 v2, s1, v19, v2
	v_mov_b32_e32 v0, v13
	s_wait_alu 0xf1ff
	v_add_co_ci_u32_e64 v3, s1, v30, v3, s1
	v_add_co_u32 v6, s1, v19, v6
	s_wait_alu 0xf1ff
	v_add_co_ci_u32_e64 v7, s1, v30, v7, s1
	v_add_co_u32 v10, s1, v19, v10
	v_mov_b32_e32 v9, v14
	v_mad_co_u64_u32 v[13:14], null, s19, v26, v[0:1]
	v_mov_b32_e32 v0, v25
	s_wait_alu 0xf1ff
	v_add_co_ci_u32_e64 v11, s1, v30, v11, s1
	v_add_co_u32 v14, s1, v19, v22
	v_or_b32_e32 v26, 0x1c0, v18
	s_wait_alu 0xf1ff
	v_add_co_ci_u32_e64 v15, s1, v30, v23, s1
	v_mad_co_u64_u32 v[22:23], null, s19, v27, v[0:1]
	s_delay_alu instid0(VALU_DEP_3) | instskip(SKIP_4) | instid1(VALU_DEP_4)
	v_mad_co_u64_u32 v[35:36], null, s18, v26, 0
	v_add_nc_u32_e32 v28, 0x1f8, v18
	v_lshlrev_b64_e32 v[8:9], 2, v[8:9]
	v_lshlrev_b64_e32 v[12:13], 2, v[12:13]
	v_mov_b32_e32 v25, v22
	v_mad_co_u64_u32 v[22:23], null, s18, v28, 0
	v_mov_b32_e32 v0, v36
	v_add_co_u32 v8, s1, v19, v8
	s_delay_alu instid0(VALU_DEP_4)
	v_lshlrev_b64_e32 v[24:25], 2, v[24:25]
	s_wait_alu 0xf1ff
	v_add_co_ci_u32_e64 v9, s1, v30, v9, s1
	v_mad_co_u64_u32 v[26:27], null, s19, v26, v[0:1]
	v_mov_b32_e32 v0, v23
	v_add_co_u32 v12, s1, v19, v12
	s_wait_alu 0xf1ff
	v_add_co_ci_u32_e64 v13, s1, v30, v13, s1
	s_delay_alu instid0(VALU_DEP_3)
	v_mad_co_u64_u32 v[27:28], null, s19, v28, v[0:1]
	v_add_co_u32 v23, s1, v19, v24
	s_wait_alu 0xf1ff
	v_add_co_ci_u32_e64 v24, s1, v30, v25, s1
	v_mov_b32_e32 v36, v26
	s_clause 0x7
	global_load_b32 v0, v[4:5], off
	global_load_b32 v25, v[2:3], off
	;; [unrolled: 1-line block ×8, first 2 shown]
	v_mad_co_u64_u32 v[5:6], null, s18, v39, 0
	v_dual_mov_b32 v4, v38 :: v_dual_mov_b32 v23, v27
	v_lshlrev_b64_e32 v[2:3], 2, v[35:36]
	v_add_nc_u32_e32 v27, 0x310, v18
	s_delay_alu instid0(VALU_DEP_3) | instskip(NEXT) | instid1(VALU_DEP_4)
	v_mad_co_u64_u32 v[7:8], null, s19, v33, v[4:5]
	v_lshlrev_b64_e32 v[8:9], 2, v[22:23]
	v_add_nc_u32_e32 v22, 0x2a0, v18
	v_mov_b32_e32 v4, v6
	v_add_co_u32 v2, s1, v19, v2
	s_wait_alu 0xf1ff
	v_add_co_ci_u32_e64 v3, s1, v30, v3, s1
	v_mad_co_u64_u32 v[10:11], null, s18, v22, 0
	v_mov_b32_e32 v38, v7
	v_mad_co_u64_u32 v[6:7], null, s19, v39, v[4:5]
	v_add_co_u32 v7, s1, v19, v8
	s_wait_alu 0xf1ff
	v_add_co_ci_u32_e64 v8, s1, v30, v9, s1
	v_dual_mov_b32 v4, v11 :: v_dual_add_nc_u32 v9, 0x2d8, v18
	v_lshlrev_b64_e32 v[12:13], 2, v[37:38]
	v_or_b32_e32 v33, 0x380, v18
	s_delay_alu instid0(VALU_DEP_3) | instskip(NEXT) | instid1(VALU_DEP_4)
	v_mad_co_u64_u32 v[14:15], null, s18, v9, 0
	v_mad_co_u64_u32 v[22:23], null, s19, v22, v[4:5]
	;; [unrolled: 1-line block ×3, first 2 shown]
	v_lshlrev_b64_e32 v[5:6], 2, v[5:6]
	v_add_co_u32 v12, s1, v19, v12
	s_delay_alu instid0(VALU_DEP_4) | instskip(SKIP_3) | instid1(VALU_DEP_3)
	v_dual_mov_b32 v4, v15 :: v_dual_mov_b32 v11, v22
	v_add_nc_u32_e32 v22, 0x348, v18
	s_wait_alu 0xf1ff
	v_add_co_ci_u32_e64 v13, s1, v30, v13, s1
	v_mad_co_u64_u32 v[35:36], null, s19, v9, v[4:5]
	v_mov_b32_e32 v4, v24
	v_mad_co_u64_u32 v[36:37], null, s18, v22, 0
	v_lshlrev_b64_e32 v[9:10], 2, v[10:11]
	s_delay_alu instid0(VALU_DEP_3)
	v_mad_co_u64_u32 v[38:39], null, s19, v27, v[4:5]
	v_mov_b32_e32 v15, v35
	v_mad_co_u64_u32 v[39:40], null, s18, v33, 0
	v_add_co_u32 v4, s1, v19, v5
	s_wait_alu 0xf1ff
	v_add_co_ci_u32_e64 v5, s1, v30, v6, s1
	v_mov_b32_e32 v6, v37
	v_mov_b32_e32 v24, v38
	v_lshlrev_b64_e32 v[14:15], 2, v[14:15]
	v_add_co_u32 v9, s1, v19, v9
	s_delay_alu instid0(VALU_DEP_4)
	v_mad_co_u64_u32 v[37:38], null, s19, v22, v[6:7]
	v_mov_b32_e32 v6, v40
	v_lshlrev_b64_e32 v[22:23], 2, v[23:24]
	s_wait_alu 0xf1ff
	v_add_co_ci_u32_e64 v10, s1, v30, v10, s1
	v_add_co_u32 v14, s1, v19, v14
	v_mad_co_u64_u32 v[40:41], null, s19, v33, v[6:7]
	v_lshlrev_b64_e32 v[35:36], 2, v[36:37]
	s_wait_alu 0xf1ff
	v_add_co_ci_u32_e64 v15, s1, v30, v15, s1
	v_add_co_u32 v22, s1, v19, v22
	s_wait_alu 0xf1ff
	v_add_co_ci_u32_e64 v23, s1, v30, v23, s1
	v_lshlrev_b64_e32 v[37:38], 2, v[39:40]
	v_add_co_u32 v45, s1, v19, v35
	s_wait_alu 0xf1ff
	v_add_co_ci_u32_e64 v46, s1, v30, v36, s1
	s_delay_alu instid0(VALU_DEP_3)
	v_add_co_u32 v37, s1, v19, v37
	s_wait_alu 0xf1ff
	v_add_co_ci_u32_e64 v38, s1, v30, v38, s1
	s_clause 0x8
	global_load_b32 v35, v[2:3], off
	global_load_b32 v36, v[7:8], off
	global_load_b32 v39, v[12:13], off
	global_load_b32 v41, v[4:5], off
	global_load_b32 v42, v[9:10], off
	global_load_b32 v43, v[14:15], off
	global_load_b32 v44, v[22:23], off
	global_load_b32 v45, v[45:46], off
	global_load_b32 v46, v[37:38], off
	s_wait_loadcnt 0x10
	v_lshrrev_b32_e32 v5, 16, v0
	s_wait_loadcnt 0xf
	v_lshrrev_b32_e32 v33, 16, v25
	;; [unrolled: 2-line block ×17, first 2 shown]
.LBB0_10:
	s_wait_alu 0xfffe
	s_or_b32 exec_lo, exec_lo, s10
	v_add_f16_e32 v4, v25, v46
	s_delay_alu instid0(VALU_DEP_2)
	v_sub_f16_e32 v64, v33, v6
	v_add_f16_e32 v37, v26, v45
	v_sub_f16_e32 v65, v30, v7
	v_add_f16_e32 v38, v29, v44
	v_pk_mul_f16 v66, 0x39e93722, v4 op_sel_hi:[1,0]
	v_pk_mul_f16 v72, 0x2de8b461, v4 op_sel_hi:[1,0]
	;; [unrolled: 1-line block ×4, first 2 shown]
	v_sub_f16_e32 v56, v27, v8
	v_pk_fma_f16 v3, 0xb964bb29, v64, v66 op_sel_hi:[1,0,1]
	v_pk_fma_f16 v22, 0xbbf7bbb2, v64, v72 op_sel_hi:[1,0,1]
	v_add_f16_e32 v40, v31, v43
	v_pk_fma_f16 v57, 0xbbf7ba62, v65, v63 op_sel_hi:[1,0,1]
	v_pk_mul_f16 v62, 0xb8d2bbdd, v38 op_sel_hi:[1,0]
	v_pk_add_f16 v3, v0, v3 op_sel_hi:[0,1]
	v_pk_add_f16 v22, v0, v22 op_sel_hi:[0,1]
	v_pk_fma_f16 v58, 0xb1e13836, v65, v73 op_sel_hi:[1,0,1]
	v_pk_mul_f16 v74, 0xb46139e9, v38 op_sel_hi:[1,0]
	v_sub_f16_e32 v55, v24, v9
	v_add_f16_e32 v47, v32, v42
	v_pk_add_f16 v3, v57, v3
	v_pk_fma_f16 v57, 0xba6231e1, v56, v62 op_sel_hi:[1,0,1]
	v_pk_mul_f16 v61, 0xbbddb461, v40 op_sel_hi:[1,0]
	v_pk_add_f16 v22, v58, v22
	v_pk_fma_f16 v58, 0x3bb23964, v56, v74 op_sel_hi:[1,0,1]
	v_pk_mul_f16 v71, 0x3b763722, v40 op_sel_hi:[1,0]
	v_mul_hi_u32 v2, 0xaaaaaaab, v1
	v_sub_f16_e32 v54, v23, v10
	v_add_f16_e32 v48, v34, v41
	v_pk_add_f16 v3, v57, v3
	v_pk_fma_f16 v57, 0xb1e13bb2, v55, v61 op_sel_hi:[1,0,1]
	v_pk_mul_f16 v60, 0xbacd39e9, v47 op_sel_hi:[1,0]
	v_pk_add_f16 v22, v58, v22
	v_pk_fma_f16 v58, 0x35c8bb29, v55, v71 op_sel_hi:[1,0,1]
	v_pk_mul_f16 v70, 0x3722bbdd, v47 op_sel_hi:[1,0]
	v_lshrrev_b32_e32 v2, 1, v2
	v_sub_f16_e32 v51, v19, v11
	v_add_f16_e32 v50, v28, v39
	v_pk_add_f16 v3, v57, v3
	v_pk_fma_f16 v57, 0x38363964, v54, v60 op_sel_hi:[1,0,1]
	v_pk_mul_f16 v59, 0xb4613b76, v48 op_sel_hi:[1,0]
	v_pk_add_f16 v22, v58, v22
	v_pk_fma_f16 v67, 0xbb29b1e1, v54, v70 op_sel_hi:[1,0,1]
	v_pk_mul_f16 v69, 0xbacd2de8, v48 op_sel_hi:[1,0]
	v_lshl_add_u32 v2, v2, 1, v2
	v_sub_f16_e32 v49, v15, v12
	v_add_f16_e32 v53, v35, v36
	v_pk_add_f16 v3, v57, v3
	v_pk_fma_f16 v57, 0x3bb2b5c8, v51, v59 op_sel_hi:[1,0,1]
	v_pk_mul_f16 v58, 0x37222de8, v50 op_sel_hi:[1,0]
	v_pk_add_f16 v22, v67, v22
	v_pk_fma_f16 v67, 0xb8363bf7, v51, v69 op_sel_hi:[1,0,1]
	v_pk_mul_f16 v68, 0xb8d23b76, v50 op_sel_hi:[1,0]
	v_sub_f16_e32 v52, v14, v13
	v_pk_add_f16 v3, v57, v3
	v_pk_fma_f16 v75, 0x3b29bbf7, v49, v58 op_sel_hi:[1,0,1]
	v_pk_mul_f16 v57, 0x3b76bacd, v53 op_sel_hi:[1,0]
	v_pk_add_f16 v22, v67, v22
	v_pk_fma_f16 v76, 0x3a62b5c8, v49, v68 op_sel_hi:[1,0,1]
	v_pk_mul_f16 v67, 0x39e9b8d2, v53 op_sel_hi:[1,0]
	v_sub_nc_u32_e32 v1, v1, v2
	v_pk_add_f16 v2, v75, v3
	v_pk_fma_f16 v3, 0x35c8b836, v52, v57 op_sel_hi:[1,0,1]
	v_pk_add_f16 v22, v76, v22
	v_pk_fma_f16 v75, 0x3964ba62, v52, v67 op_sel_hi:[1,0,1]
	v_mul_u32_u24_e32 v1, 0x3b8, v1
	s_delay_alu instid0(VALU_DEP_4) | instskip(NEXT) | instid1(VALU_DEP_3)
	v_pk_add_f16 v3, v3, v2
	v_pk_add_f16 v2, v75, v22
	s_delay_alu instid0(VALU_DEP_3)
	v_lshlrev_b32_e32 v22, 1, v1
	s_and_saveexec_b32 s1, s0
	s_cbranch_execz .LBB0_12
; %bb.11:
	v_mul_f16_e32 v75, 0xb1e1, v64
	v_mul_f16_e32 v78, 0x35c8, v65
	;; [unrolled: 1-line block ×4, first 2 shown]
	v_pack_b32_f16 v76, v4, v4
	v_fma_f16 v79, v4, 0xbbdd, -v75
	v_fma_f16 v83, v37, 0x3b76, -v78
	;; [unrolled: 1-line block ×3, first 2 shown]
	v_pack_b32_f16 v77, v64, v64
	v_mul_f16_e32 v89, 0xba62, v54
	v_add_f16_e32 v79, v0, v79
	v_fma_f16 v90, v40, 0x39e9, -v86
	v_pack_b32_f16 v1, v37, v37
	v_pack_b32_f16 v80, v65, v65
	v_pk_mul_f16 v91, 0xbbf7bbb2, v64 op_sel_hi:[1,0]
	v_add_f16_e32 v79, v83, v79
	v_fma_f16 v93, v47, 0xb8d2, -v89
	v_pk_mul_f16 v94, 0xbacdb8d2, v76
	v_pk_mul_f16 v95, 0xb836ba62, v77
	v_pack_b32_f16 v81, v38, v38
	v_add_f16_e32 v79, v87, v79
	v_pack_b32_f16 v84, v56, v56
	v_pk_mul_f16 v92, 0xb1e13836, v65 op_sel_hi:[1,0]
	v_add_f16_e32 v98, v95, v94
	v_pk_mul_f16 v99, 0x3b293bb2, v80
	v_add_f16_e32 v79, v90, v79
	v_sub_f16_e32 v72, v72, v91
	v_pack_b32_f16 v85, v40, v40
	v_pack_b32_f16 v83, v55, v55
	v_pk_mul_f16 v96, 0x3bb23964, v56 op_sel_hi:[1,0]
	v_add_f16_e32 v79, v93, v79
	v_pk_mul_f16 v93, 0x3722b461, v1
	v_pk_mul_f16 v91, 0x2de83b76, v81
	;; [unrolled: 1-line block ×3, first 2 shown]
	v_add_f16_e32 v98, v0, v98
	v_add_f16_e32 v72, v0, v72
	;; [unrolled: 1-line block ×3, first 2 shown]
	v_sub_f16_e32 v73, v73, v92
	v_mul_f16_e32 v90, 0x3b29, v51
	v_pk_mul_f16 v102, 0xb8d2bacd, v85
	v_pk_mul_f16 v97, 0x35c8bb29, v55 op_sel_hi:[1,0]
	v_add_f16_e32 v98, v101, v98
	v_add_f16_e32 v101, v100, v91
	;; [unrolled: 1-line block ×3, first 2 shown]
	v_sub_f16_e32 v73, v74, v96
	v_pk_mul_f16 v74, 0x3a62b836, v83
	v_fma_f16 v92, v48, 0x3722, -v90
	v_mul_f16_e32 v96, 0xbbb2, v49
	v_add_f16_e32 v98, v101, v98
	v_add_f16_e32 v72, v73, v72
	;; [unrolled: 1-line block ×4, first 2 shown]
	v_sub_f16_e32 v71, v71, v97
	v_pk_mul_f16 v97, 0xbb29b1e1, v54 op_sel_hi:[1,0]
	v_mul_f16_e32 v111, 0x3b76, v4
	v_add_f16_e32 v98, v101, v98
	v_fma_f16 v101, v50, 0xb461, -v96
	v_add_f16_e32 v71, v71, v72
	v_sub_f16_e32 v70, v70, v97
	v_pack_b32_f16 v88, v47, v47
	v_pack_b32_f16 v87, v54, v54
	v_add_f16_e32 v79, v101, v79
	v_pk_mul_f16 v101, 0xb8363bf7, v51 op_sel_hi:[1,0]
	v_add_f16_e32 v70, v70, v71
	v_mul_f16_e32 v114, 0x3722, v38
	v_pk_mul_f16 v92, 0x3b762de8, v88
	v_pk_mul_f16 v73, 0xb5c83bf7, v87
	v_sub_f16_e32 v69, v69, v101
	v_pk_mul_f16 v101, 0x3a62b5c8, v49 op_sel_hi:[1,0]
	v_pk_mul_f16 v115, 0x3964ba62, v52 op_sel_hi:[1,0]
	v_mul_f16_e32 v118, 0x2de8, v40
	v_add_f16_e32 v72, v73, v92
	v_add_f16_e32 v69, v69, v70
	v_sub_f16_e32 v68, v68, v101
	v_fmamk_f16 v70, v64, 0xb5c8, v111
	v_mul_f16_e32 v101, 0x39e9, v37
	v_mul_f16_e32 v97, 0x3bf7, v52
	v_pack_b32_f16 v103, v48, v48
	v_pack_b32_f16 v104, v51, v51
	v_add_f16_e32 v70, v0, v70
	v_fmamk_f16 v113, v65, 0xb964, v101
	v_add_f16_e32 v68, v68, v69
	v_sub_f16_e32 v67, v67, v115
	v_add_f16_e32 v72, v72, v98
	v_pk_mul_f16 v98, 0xbbdd39e9, v103
	v_add_f16_e32 v70, v113, v70
	v_fmamk_f16 v113, v56, 0xbb29, v114
	v_pk_mul_f16 v105, 0xb1e1b964, v104
	v_pack_b32_f16 v106, v50, v50
	v_pack_b32_f16 v107, v49, v49
	v_fma_f16 v71, v53, 0x2de8, -v97
	v_add_f16_e32 v70, v113, v70
	v_fmamk_f16 v113, v55, 0xbbf7, v118
	v_add_f16_e32 v67, v67, v68
	v_bfi_b32 v66, 0xffff, v111, v66
	v_add_f16_e32 v111, v0, v25
	v_add_f16_e32 v108, v105, v98
	;; [unrolled: 1-line block ×3, first 2 shown]
	v_pk_mul_f16 v70, 0xb964bb29, v64 op_sel_hi:[1,0]
	v_mul_f16_e32 v64, 0xb5c8, v64
	v_pk_mul_f16 v109, 0x39e9bbdd, v106
	v_pk_mul_f16 v110, 0x3964b1e1, v107
	v_add_f16_e32 v71, v71, v79
	v_pk_mul_f16 v79, 0xbbf7ba62, v65 op_sel_hi:[1,0]
	v_mul_f16_e32 v65, 0xb964, v65
	v_bfi_b32 v64, 0xffff, v64, v70
	v_add_f16_e32 v70, v111, v26
	v_add_f16_e32 v72, v108, v72
	;; [unrolled: 1-line block ×3, first 2 shown]
	v_bfi_b32 v63, 0xffff, v101, v63
	v_bfi_b32 v65, 0xffff, v65, v79
	v_add_f16_e32 v70, v70, v29
	v_pack_b32_f16 v112, v52, v52
	v_add_f16_e32 v72, v108, v72
	v_pack_b32_f16 v108, v53, v53
	v_pk_add_f16 v64, v66, v64 neg_lo:[0,1] neg_hi:[0,1]
	v_perm_b32 v0, v0, v0, 0x5040100
	v_pk_mul_f16 v66, 0xba6231e1, v56 op_sel_hi:[1,0]
	v_mul_f16_e32 v56, 0xbb29, v56
	v_pk_add_f16 v63, v63, v65 neg_lo:[0,1] neg_hi:[0,1]
	v_add_f16_e32 v65, v70, v31
	v_pk_mul_f16 v116, 0xb4613722, v108
	v_pk_mul_f16 v117, 0xbbb23b29, v112
	v_pk_add_f16 v64, v0, v64
	v_bfi_b32 v62, 0xffff, v114, v62
	v_bfi_b32 v56, 0xffff, v56, v66
	v_add_f16_e32 v65, v65, v32
	v_add_f16_e32 v69, v117, v116
	v_pk_add_f16 v63, v63, v64
	v_pk_mul_f16 v64, 0xb1e13bb2, v55 op_sel_hi:[1,0]
	v_mul_f16_e32 v55, 0xbbf7, v55
	v_pk_add_f16 v56, v62, v56 neg_lo:[0,1] neg_hi:[0,1]
	v_add_f16_e32 v62, v65, v34
	v_add_f16_e32 v69, v69, v72
	v_mul_f16_e32 v72, 0xb461, v47
	v_bfi_b32 v61, 0xffff, v118, v61
	v_bfi_b32 v55, 0xffff, v55, v64
	v_add_f16_e32 v62, v62, v28
	v_pk_add_f16 v56, v56, v63
	v_fmamk_f16 v113, v54, 0xbbb2, v72
	v_pk_mul_f16 v63, 0x38363964, v54 op_sel_hi:[1,0]
	v_mul_f16_e32 v54, 0xbbb2, v54
	v_pk_add_f16 v55, v61, v55 neg_lo:[0,1] neg_hi:[0,1]
	v_add_f16_e32 v61, v62, v35
	v_mul_f16_e32 v66, 0xb8d2, v48
	v_bfi_b32 v60, 0xffff, v72, v60
	v_bfi_b32 v54, 0xffff, v54, v63
	v_pk_add_f16 v55, v55, v56
	v_add_f16_e32 v56, v61, v36
	v_pk_mul_f16 v61, 0x3bf73b29, v77
	v_add_f16_e32 v68, v113, v68
	v_fmamk_f16 v70, v51, 0xba62, v66
	v_mul_f16_e32 v65, 0xbacd, v50
	v_pk_add_f16 v54, v60, v54 neg_lo:[0,1] neg_hi:[0,1]
	v_pk_mul_f16 v60, 0x3bb2b5c8, v51 op_sel_hi:[1,0]
	v_mul_f16_e32 v51, 0xba62, v51
	v_pk_fma_f16 v61, 0x2de83722, v76, v61
	v_pk_mul_f16 v63, 0x31e13a62, v80
	v_add_f16_e32 v64, v70, v68
	v_fmamk_f16 v68, v49, 0xb836, v65
	v_bfi_b32 v59, 0xffff, v66, v59
	v_bfi_b32 v51, 0xffff, v51, v60
	v_pk_add_f16 v60, v0, v61
	v_pk_fma_f16 v61, 0xbbddb8d2, v1, v63
	v_pk_mul_f16 v63, 0xbbb2b1e1, v84
	v_add_f16_e32 v62, v68, v64
	v_pk_add_f16 v54, v54, v55
	v_pk_add_f16 v51, v59, v51 neg_lo:[0,1] neg_hi:[0,1]
	v_pk_mul_f16 v55, 0x3b29bbf7, v49 op_sel_hi:[1,0]
	v_pk_add_f16 v59, v61, v60
	v_mul_f16_e32 v49, 0xb836, v49
	v_pk_fma_f16 v63, 0xb461bbdd, v81, v63
	v_pk_mul_f16 v64, 0xb5c8bbb2, v83
	v_pk_mul_f16 v60, 0x35c8b836, v52 op_sel_hi:[1,0]
	v_mul_f16_e32 v4, 0xbbdd, v4
	v_bfi_b32 v58, 0xffff, v65, v58
	v_mul_f16_e32 v61, 0x2de8, v53
	v_mul_f16_e32 v53, 0xbbdd, v53
	v_bfi_b32 v49, 0xffff, v49, v55
	v_mul_f16_e32 v55, 0xb1e1, v52
	v_pk_add_f16 v59, v63, v59
	v_pk_fma_f16 v63, 0x3b76b461, v85, v64
	v_pk_mul_f16 v64, 0x3b29b964, v87
	v_mul_f16_e32 v37, 0x3b76, v37
	v_fmamk_f16 v52, v52, 0xb1e1, v53
	v_pk_add_f16 v51, v51, v54
	v_pk_add_f16 v49, v58, v49 neg_lo:[0,1] neg_hi:[0,1]
	v_bfi_b32 v53, 0xffff, v53, v57
	v_bfi_b32 v55, 0xffff, v55, v60
	v_pk_add_f16 v57, v63, v59
	v_pk_fma_f16 v58, 0x372239e9, v88, v64
	v_bfi_b32 v59, 0xffff, v75, v95
	v_bfi_b32 v4, 0xffff, v4, v94
	v_mul_f16_e32 v38, 0xbacd, v38
	v_pk_add_f16 v49, v49, v51
	v_pk_add_f16 v51, v53, v55 neg_lo:[0,1] neg_hi:[0,1]
	v_pk_add_f16 v53, v58, v57
	v_pk_fma_f16 v55, 0xbacdb8d2, v76, v95 neg_lo:[0,0,1] neg_hi:[0,0,1]
	v_pk_add_f16 v4, v59, v4
	v_bfi_b32 v57, 0xffff, v78, v99
	v_bfi_b32 v37, 0xffff, v37, v93
	v_mul_f16_e32 v40, 0x39e9, v40
	v_pk_add_f16 v55, v0, v55
	v_pk_add_f16 v0, v0, v4
	v_bfi_b32 v38, 0xffff, v38, v91
	v_pk_add_f16 v4, v57, v37
	v_bfi_b32 v37, 0xffff, v82, v100
	v_add_f16_e32 v56, v56, v39
	v_pk_mul_f16 v58, 0x383635c8, v104
	v_pk_fma_f16 v1, 0x3722b461, v1, v99 neg_lo:[0,0,1] neg_hi:[0,0,1]
	v_mul_f16_e32 v47, 0xb8d2, v47
	v_pk_add_f16 v0, v4, v0
	v_pk_add_f16 v4, v37, v38
	v_bfi_b32 v37, 0xffff, v86, v74
	v_bfi_b32 v38, 0xffff, v40, v102
	v_add_f16_e32 v56, v56, v41
	v_pk_fma_f16 v57, 0xbacd3b76, v103, v58
	v_pk_add_f16 v1, v1, v55
	v_pk_fma_f16 v55, 0x2de83b76, v81, v100 neg_lo:[0,0,1] neg_hi:[0,0,1]
	v_mul_f16_e32 v48, 0x3722, v48
	v_pk_add_f16 v0, v4, v0
	v_pk_add_f16 v4, v37, v38
	v_bfi_b32 v37, 0xffff, v89, v73
	v_bfi_b32 v38, 0xffff, v47, v92
	v_add_f16_e32 v56, v56, v42
	v_pk_add_f16 v40, v57, v53
	v_pk_add_f16 v1, v55, v1
	v_pk_fma_f16 v53, 0xb8d2bacd, v85, v74 neg_lo:[0,0,1] neg_hi:[0,0,1]
	v_mul_f16_e32 v50, 0xb461, v50
	v_pk_add_f16 v0, v4, v0
	v_pk_add_f16 v4, v37, v38
	v_bfi_b32 v37, 0xffff, v90, v105
	v_bfi_b32 v38, 0xffff, v48, v98
	v_add_f16_e32 v56, v56, v43
	v_pk_mul_f16 v47, 0xba623bf7, v107
	v_pk_add_f16 v1, v53, v1
	v_pk_fma_f16 v53, 0x3b762de8, v88, v73 neg_lo:[0,0,1] neg_hi:[0,0,1]
	v_pk_add_f16 v0, v4, v0
	v_pk_add_f16 v4, v37, v38
	v_bfi_b32 v37, 0xffff, v96, v110
	v_bfi_b32 v38, 0xffff, v50, v109
	v_add_f16_e32 v56, v56, v44
	v_pk_fma_f16 v47, 0xb8d22de8, v106, v47
	v_pk_add_f16 v1, v53, v1
	v_pk_fma_f16 v48, 0xbbdd39e9, v103, v105 neg_lo:[0,0,1] neg_hi:[0,0,1]
	v_pk_mul_f16 v50, 0xb9643836, v112
	v_pk_add_f16 v0, v4, v0
	v_pk_add_f16 v4, v37, v38
	v_bfi_b32 v37, 0xffff, v97, v117
	v_bfi_b32 v38, 0xffff, v61, v116
	v_add_f16_e32 v56, v56, v45
	v_pk_add_f16 v1, v48, v1
	v_pk_fma_f16 v48, 0x39e9bbdd, v106, v110 neg_lo:[0,0,1] neg_hi:[0,0,1]
	v_pk_add_f16 v40, v47, v40
	v_pk_fma_f16 v47, 0x39e9bacd, v108, v50
	v_pk_add_f16 v0, v4, v0
	v_pk_add_f16 v4, v37, v38
	v_add_f16_e32 v56, v56, v46
	v_mul_u32_u24_e32 v54, 34, v18
	v_pk_add_f16 v1, v48, v1
	v_pk_fma_f16 v37, 0xb4613722, v108, v117 neg_lo:[0,0,1] neg_hi:[0,0,1]
	v_pk_add_f16 v38, v47, v40
	v_pk_add_f16 v40, v51, v49
	;; [unrolled: 1-line block ×3, first 2 shown]
	v_add3_u32 v51, 0, v54, v22
	v_pk_add_f16 v50, v37, v1
	v_alignbit_b32 v49, v67, v38, 16
	v_alignbit_b32 v48, v38, v40, 16
	v_pack_b32_f16 v47, v56, v40
	v_alignbit_b32 v1, v69, v0, 16
	v_pack_b32_f16 v0, v71, v0
	v_add_f16_e32 v4, v52, v62
	ds_store_b128 v51, v[47:50]
	ds_store_b128 v51, v[0:3] offset:16
	ds_store_b16 v51, v4 offset:32
.LBB0_12:
	s_wait_alu 0xfffe
	s_or_b32 exec_lo, exec_lo, s1
	v_lshlrev_b32_e32 v0, 1, v18
	global_wb scope:SCOPE_SE
	s_wait_dscnt 0x0
	s_barrier_signal -1
	s_barrier_wait -1
	global_inv scope:SCOPE_SE
	v_add_nc_u32_e32 v4, 0, v0
	v_add3_u32 v0, 0, v22, v0
	v_cmp_gt_u32_e64 s1, 34, v18
	s_delay_alu instid0(VALU_DEP_3)
	v_add_nc_u32_e32 v1, v4, v22
	ds_load_u16 v49, v0
	ds_load_u16 v47, v1 offset:136
	ds_load_u16 v50, v1 offset:612
	;; [unrolled: 1-line block ×11, first 2 shown]
	s_and_saveexec_b32 s4, s1
	s_cbranch_execz .LBB0_14
; %bb.13:
	ds_load_u16 v2, v1 offset:408
	ds_load_u16 v3, v1 offset:1360
	s_wait_dscnt 0x1
	ds_load_u16_d16_hi v2, v1 offset:884
	s_wait_dscnt 0x1
	ds_load_u16_d16_hi v3, v1 offset:1836
.LBB0_14:
	s_wait_alu 0xfffe
	s_or_b32 exec_lo, exec_lo, s4
	v_sub_f16_e32 v73, v25, v46
	v_add_f16_e32 v70, v33, v6
	v_sub_f16_e32 v72, v26, v45
	v_sub_f16_e32 v57, v34, v41
	v_add_f16_e32 v69, v30, v7
	v_pk_mul_f16 v58, 0xb964bb29, v73 op_sel_hi:[1,0]
	v_pk_mul_f16 v34, 0xbbf7bbb2, v73 op_sel_hi:[1,0]
	v_sub_f16_e32 v71, v29, v44
	v_pk_mul_f16 v64, 0xbbf7ba62, v72 op_sel_hi:[1,0]
	v_sub_f16_e32 v29, v35, v36
	v_pk_fma_f16 v25, 0x39e93722, v70, v58 op_sel_hi:[1,0,1] neg_lo:[0,0,1] neg_hi:[0,0,1]
	v_pk_fma_f16 v26, 0x2de8b461, v70, v34 op_sel_hi:[1,0,1] neg_lo:[0,0,1] neg_hi:[0,0,1]
	v_pk_mul_f16 v35, 0xb1e13836, v72 op_sel_hi:[1,0]
	v_add_f16_e32 v68, v27, v8
	v_sub_f16_e32 v67, v31, v43
	v_sub_f16_e32 v66, v32, v42
	v_pk_add_f16 v25, v5, v25 op_sel_hi:[0,1]
	v_pk_fma_f16 v31, 0x2de8b8d2, v69, v64 op_sel_hi:[1,0,1] neg_lo:[0,0,1] neg_hi:[0,0,1]
	v_pk_mul_f16 v63, 0xba6231e1, v71 op_sel_hi:[1,0]
	v_pk_add_f16 v26, v5, v26 op_sel_hi:[0,1]
	v_pk_fma_f16 v32, 0xbbddbacd, v69, v35 op_sel_hi:[1,0,1] neg_lo:[0,0,1] neg_hi:[0,0,1]
	v_pk_mul_f16 v36, 0x3bb23964, v71 op_sel_hi:[1,0]
	v_add_f16_e32 v65, v24, v9
	v_sub_f16_e32 v45, v28, v39
	v_pk_add_f16 v25, v31, v25
	v_pk_fma_f16 v31, 0xb8d2bbdd, v68, v63 op_sel_hi:[1,0,1] neg_lo:[0,0,1] neg_hi:[0,0,1]
	v_pk_mul_f16 v62, 0xb1e13bb2, v67 op_sel_hi:[1,0]
	v_pk_add_f16 v26, v32, v26
	v_pk_fma_f16 v32, 0xb46139e9, v68, v36 op_sel_hi:[1,0,1] neg_lo:[0,0,1] neg_hi:[0,0,1]
	v_pk_mul_f16 v39, 0x35c8bb29, v67 op_sel_hi:[1,0]
	v_add_f16_e32 v59, v23, v10
	v_pk_add_f16 v25, v31, v25
	v_pk_fma_f16 v31, 0xbbddb461, v65, v62 op_sel_hi:[1,0,1] neg_lo:[0,0,1] neg_hi:[0,0,1]
	v_pk_mul_f16 v61, 0x38363964, v66 op_sel_hi:[1,0]
	v_pk_add_f16 v26, v32, v26
	v_pk_fma_f16 v32, 0x3b763722, v65, v39 op_sel_hi:[1,0,1] neg_lo:[0,0,1] neg_hi:[0,0,1]
	v_pk_mul_f16 v41, 0xbb29b1e1, v66 op_sel_hi:[1,0]
	v_add_f16_e32 v46, v19, v11
	;; [unrolled: 7-line block ×4, first 2 shown]
	v_pk_add_f16 v25, v31, v25
	v_pk_fma_f16 v75, 0x37222de8, v44, v56 op_sel_hi:[1,0,1] neg_lo:[0,0,1] neg_hi:[0,0,1]
	v_pk_mul_f16 v43, 0x35c8b836, v29 op_sel_hi:[1,0]
	v_pk_add_f16 v26, v74, v26
	v_pk_fma_f16 v74, 0xb8d23b76, v44, v32 op_sel_hi:[1,0,1] neg_lo:[0,0,1] neg_hi:[0,0,1]
	v_pk_mul_f16 v31, 0x3964ba62, v29 op_sel_hi:[1,0]
	v_pk_add_f16 v25, v75, v25
	v_pk_fma_f16 v75, 0x3b76bacd, v28, v43 op_sel_hi:[1,0,1] neg_lo:[0,0,1] neg_hi:[0,0,1]
	global_wb scope:SCOPE_SE
	s_wait_dscnt 0x0
	v_pk_add_f16 v74, v74, v26
	v_pk_fma_f16 v76, 0x39e9b8d2, v28, v31 op_sel_hi:[1,0,1] neg_lo:[0,0,1] neg_hi:[0,0,1]
	s_barrier_signal -1
	v_pk_add_f16 v26, v75, v25
	s_barrier_wait -1
	global_inv scope:SCOPE_SE
	v_pk_add_f16 v25, v76, v74
	s_and_saveexec_b32 s4, s0
	s_cbranch_execz .LBB0_16
; %bb.15:
	v_add_f16_e32 v33, v5, v33
	v_pack_b32_f16 v76, v73, v73
	v_mul_f16_e32 v100, 0xb5c8, v73
	v_mul_f16_e32 v73, 0xba62, v73
	v_pack_b32_f16 v74, v70, v70
	v_add_f16_e32 v30, v33, v30
	v_pk_mul_f16 v75, 0x39e93722, v70 op_sel_hi:[1,0]
	v_pack_b32_f16 v79, v72, v72
	v_pk_mul_f16 v93, 0x2de8b461, v70 op_sel_hi:[1,0]
	v_mul_f16_e32 v99, 0x3b76, v70
	v_add_f16_e32 v27, v30, v27
	v_mul_f16_e32 v101, 0xb964, v72
	v_mul_f16_e32 v72, 0x3bb2, v72
	v_fma_f16 v104, v70, 0x3b76, -v100
	v_pack_b32_f16 v81, v71, v71
	v_add_f16_e32 v24, v27, v24
	v_pack_b32_f16 v33, v69, v69
	v_fmamk_f16 v105, v69, 0xb461, v72
	v_add_f16_e32 v104, v5, v104
	v_pk_mul_f16 v78, 0x2de8b8d2, v69 op_sel_hi:[1,0]
	v_add_f16_e32 v23, v24, v23
	v_pack_b32_f16 v80, v68, v68
	v_pk_mul_f16 v30, 0xb8d2bbdd, v68 op_sel_hi:[1,0]
	v_pk_mul_f16 v94, 0xbbddbacd, v69 op_sel_hi:[1,0]
	;; [unrolled: 1-line block ×3, first 2 shown]
	v_add_f16_e32 v19, v23, v19
	v_mul_f16_e32 v102, 0x3722, v68
	v_mul_f16_e32 v103, 0xbbf7, v67
	v_pack_b32_f16 v82, v65, v65
	v_pk_mul_f16 v83, 0xbbddb461, v65 op_sel_hi:[1,0]
	v_add_f16_e32 v15, v19, v15
	v_pack_b32_f16 v27, v67, v67
	v_pack_b32_f16 v86, v66, v66
	;; [unrolled: 1-line block ×3, first 2 shown]
	v_pk_mul_f16 v85, 0xbacd39e9, v59 op_sel_hi:[1,0]
	v_add_f16_e32 v14, v15, v14
	v_pk_mul_f16 v15, 0x3b763722, v65 op_sel_hi:[1,0]
	v_pk_mul_f16 v96, 0x3722bbdd, v59 op_sel_hi:[1,0]
	v_bfi_b32 v58, 0xffff, v100, v58
	v_perm_b32 v77, v5, v5, 0x5040100
	v_add_f16_e32 v13, v14, v13
	v_pack_b32_f16 v88, v57, v57
	v_pack_b32_f16 v24, v46, v46
	v_pk_mul_f16 v87, 0xb4613b76, v46 op_sel_hi:[1,0]
	v_pk_mul_f16 v97, 0xbacd2de8, v46 op_sel_hi:[1,0]
	v_add_f16_e32 v12, v13, v12
	v_mul_f16_e32 v13, 0x39e9, v69
	v_bfi_b32 v30, 0xffff, v102, v30
	v_pack_b32_f16 v89, v44, v44
	v_pk_mul_f16 v23, 0x37222de8, v44 op_sel_hi:[1,0]
	v_add_f16_e32 v11, v12, v11
	v_mul_f16_e32 v12, 0xbb29, v71
	v_mul_f16_e32 v71, 0xb5c8, v71
	v_bfi_b32 v13, 0xffff, v13, v78
	v_pack_b32_f16 v90, v45, v45
	v_add_f16_e32 v10, v11, v10
	v_fmamk_f16 v11, v70, 0xb8d2, v73
	v_fma_f16 v70, v70, 0xb8d2, -v73
	v_fma_f16 v73, v69, 0x39e9, -v101
	v_pk_mul_f16 v98, 0xb8d23b76, v44 op_sel_hi:[1,0]
	v_add_f16_e32 v9, v10, v9
	v_fma_f16 v10, v69, 0xb461, -v72
	v_fma_f16 v69, v68, 0x3722, -v12
	v_fmamk_f16 v72, v68, 0x3b76, v71
	v_fma_f16 v68, v68, 0x3b76, -v71
	v_add_f16_e32 v8, v9, v8
	v_add_f16_e32 v9, v5, v11
	;; [unrolled: 1-line block ×4, first 2 shown]
	v_bfi_b32 v12, 0xffff, v12, v63
	v_add_f16_e32 v7, v8, v7
	v_add_f16_e32 v8, v105, v9
	;; [unrolled: 1-line block ×3, first 2 shown]
	v_mul_f16_e32 v10, 0xb836, v67
	v_add_f16_e32 v11, v69, v70
	v_add_f16_e32 v67, v7, v6
	;; [unrolled: 1-line block ×4, first 2 shown]
	v_mul_f16_e32 v8, 0x2de8, v65
	v_fma_f16 v9, v65, 0x2de8, -v103
	v_fmamk_f16 v68, v65, 0xbacd, v10
	v_mul_f16_e32 v69, 0xbbb2, v66
	v_fma_f16 v10, v65, 0xbacd, -v10
	v_mul_f16_e32 v65, 0x3bf7, v66
	v_add_f16_e32 v9, v9, v11
	v_add_f16_e32 v6, v68, v6
	v_fma_f16 v11, v59, 0xb461, -v69
	v_add_f16_e32 v7, v10, v7
	v_fmamk_f16 v10, v59, 0x2de8, v65
	v_mul_f16_e32 v66, 0xba62, v57
	v_mul_f16_e32 v68, 0xb461, v59
	v_add_f16_e32 v9, v11, v9
	v_fma_f16 v11, v59, 0x2de8, -v65
	v_add_f16_e32 v6, v10, v6
	v_fma_f16 v10, v46, 0xb8d2, -v66
	v_bfi_b32 v59, 0xffff, v99, v75
	v_mul_f16_e32 v57, 0xb964, v57
	v_add_f16_e32 v7, v11, v7
	v_mul_f16_e32 v11, 0xb8d2, v46
	v_add_f16_e32 v9, v10, v9
	v_pk_add_f16 v10, v59, v58
	v_bfi_b32 v58, 0xffff, v101, v64
	v_fmamk_f16 v59, v46, 0x39e9, v57
	v_fma_f16 v46, v46, 0x39e9, -v57
	v_mul_f16_e32 v57, 0xb836, v45
	v_pk_add_f16 v10, v77, v10
	v_pk_add_f16 v13, v13, v58
	v_add_f16_e32 v58, v59, v6
	v_add_f16_e32 v6, v46, v7
	v_fma_f16 v7, v44, 0xbacd, -v57
	v_pk_add_f16 v12, v30, v12
	v_pk_add_f16 v10, v13, v10
	v_bfi_b32 v8, 0xffff, v8, v83
	v_bfi_b32 v13, 0xffff, v103, v62
	v_add_f16_e32 v7, v7, v9
	v_mul_f16_e32 v9, 0xb1e1, v45
	v_pk_add_f16 v10, v12, v10
	v_bfi_b32 v12, 0xffff, v68, v85
	v_pk_add_f16 v8, v8, v13
	v_bfi_b32 v13, 0xffff, v69, v61
	v_mul_f16_e32 v30, 0xbacd, v44
	v_fmamk_f16 v45, v44, 0xbbdd, v9
	v_fma_f16 v9, v44, 0xbbdd, -v9
	v_mul_f16_e32 v44, 0xb1e1, v29
	v_pk_add_f16 v8, v8, v10
	v_pk_add_f16 v10, v12, v13
	v_bfi_b32 v11, 0xffff, v11, v87
	v_bfi_b32 v12, 0xffff, v66, v60
	v_pk_mul_f16 v13, 0xbbf7bb29, v76
	v_add_f16_e32 v9, v9, v6
	v_fma_f16 v6, v28, 0xbbdd, -v44
	v_pk_add_f16 v8, v10, v8
	v_pk_add_f16 v10, v11, v12
	v_pk_fma_f16 v11, 0x2de83722, v74, v13
	v_pk_mul_f16 v12, 0xb1e1ba62, v79
	v_add_f16_e32 v46, v6, v7
	v_pk_mul_f16 v92, 0x3b76bacd, v28 op_sel_hi:[1,0]
	v_pk_add_f16 v6, v10, v8
	v_pk_add_f16 v7, v77, v11
	v_pk_fma_f16 v8, 0xbbddb8d2, v33, v12
	v_pk_mul_f16 v10, 0x3bb231e1, v81
	v_bfi_b32 v11, 0xffff, v30, v23
	v_bfi_b32 v12, 0xffff, v57, v56
	v_add_f16_e32 v23, v93, v34
	v_pk_add_f16 v7, v8, v7
	v_pk_fma_f16 v8, 0xb461bbdd, v80, v10
	v_pk_mul_f16 v10, 0x35c83bb2, v27
	v_pk_add_f16 v11, v11, v12
	v_add_f16_e32 v5, v5, v23
	v_add_f16_e32 v12, v94, v35
	v_pk_add_f16 v7, v8, v7
	v_pk_fma_f16 v8, 0x3b76b461, v82, v10
	v_pk_mul_f16 v10, 0xbb293964, v86
	v_pack_b32_f16 v19, v29, v29
	v_mul_f16_e32 v13, 0xbbdd, v28
	v_pk_add_f16 v6, v11, v6
	v_pk_add_f16 v7, v8, v7
	v_pk_fma_f16 v8, 0x372239e9, v84, v10
	v_pk_mul_f16 v10, 0xb836b5c8, v88
	v_add_f16_e32 v5, v12, v5
	v_add_f16_e32 v11, v95, v36
	v_pack_b32_f16 v91, v28, v28
	v_pk_add_f16 v7, v8, v7
	v_pk_fma_f16 v8, 0xbacd3b76, v24, v10
	v_pk_mul_f16 v10, 0x3a62bbf7, v90
	v_bfi_b32 v12, 0xffff, v13, v92
	v_add_f16_e32 v5, v11, v5
	v_add_f16_e32 v11, v15, v39
	v_bfi_b32 v13, 0xffff, v44, v43
	v_pk_add_f16 v7, v8, v7
	v_pk_fma_f16 v8, 0xb8d22de8, v89, v10
	v_pk_mul_f16 v10, 0x3964b836, v19
	v_add_f16_e32 v5, v11, v5
	v_add_f16_e32 v11, v96, v41
	v_pk_add_f16 v12, v12, v13
	v_pk_add_f16 v7, v8, v7
	v_pk_fma_f16 v8, 0x39e9bacd, v91, v10
	v_pk_mul_f16 v10, 0xb1e1b836, v76
	v_add_f16_e32 v11, v11, v5
	v_pk_add_f16 v5, v12, v6
	v_mul_f16_e32 v15, 0x3b29, v29
	v_pk_add_f16 v6, v8, v7
	v_pk_fma_f16 v7, 0xbbddbacd, v74, v10 neg_lo:[0,0,1] neg_hi:[0,0,1]
	v_pk_mul_f16 v8, 0x35c83b29, v79
	v_pk_fma_f16 v10, 0xbbddbacd, v74, v10
	v_pk_mul_f16 v29, 0xb836bbf7, v81
	v_pk_mul_f16 v27, 0x39643a62, v27
	v_pk_add_f16 v7, v77, v7
	v_pk_fma_f16 v23, 0x3b763722, v33, v8 neg_lo:[0,0,1] neg_hi:[0,0,1]
	v_pk_add_f16 v10, v77, v10
	v_pk_fma_f16 v8, 0x3b763722, v33, v8
	v_add_f16_e32 v13, v97, v42
	v_pk_mul_f16 v30, 0xba62b5c8, v86
	v_pk_add_f16 v7, v23, v7
	v_pk_fma_f16 v23, 0xbacd2de8, v80, v29 neg_lo:[0,0,1] neg_hi:[0,0,1]
	v_pk_add_f16 v8, v8, v10
	v_pk_fma_f16 v10, 0xbacd2de8, v80, v29
	v_add_f16_e32 v11, v13, v11
	v_pk_add_f16 v12, v98, v32
	v_pk_add_f16 v7, v23, v7
	v_pk_fma_f16 v23, 0x39e9b8d2, v82, v27 neg_lo:[0,0,1] neg_hi:[0,0,1]
	v_pk_add_f16 v8, v10, v8
	v_pk_fma_f16 v10, 0x39e9b8d2, v82, v27
	v_mul_f16_e32 v13, 0x3722, v28
	v_pk_mul_f16 v27, 0x3b29b1e1, v88
	v_pk_add_f16 v7, v23, v7
	v_pk_fma_f16 v23, 0xb8d23b76, v84, v30 neg_lo:[0,0,1] neg_hi:[0,0,1]
	v_pk_add_f16 v8, v10, v8
	v_pk_fma_f16 v10, 0xb8d23b76, v84, v30
	v_pack_b32_f16 v12, v12, v13
	v_pk_fma_f16 v13, 0x3722bbdd, v24, v27 neg_lo:[0,0,1] neg_hi:[0,0,1]
	v_pk_add_f16 v7, v23, v7
	v_pk_mul_f16 v23, 0xbbb23964, v90
	v_pk_mul_f16 v14, 0x39e9b8d2, v28 op_sel_hi:[1,0]
	v_pk_add_f16 v8, v10, v8
	v_pk_fma_f16 v10, 0x3722bbdd, v24, v27
	v_pack_b32_f16 v11, v11, v15
	v_pk_add_f16 v7, v13, v7
	v_pk_fma_f16 v13, 0xb46139e9, v89, v23 neg_lo:[0,0,1] neg_hi:[0,0,1]
	v_pk_mul_f16 v19, 0x3bf7bbb2, v19
	v_perm_b32 v14, v45, v14, 0x5040100
	v_perm_b32 v29, v58, v31, 0x5040100
	v_pk_add_f16 v8, v10, v8
	v_pk_fma_f16 v10, 0xb46139e9, v89, v23
	v_pk_add_f16 v11, v12, v11
	v_pk_add_f16 v7, v13, v7
	v_pk_fma_f16 v12, 0x2de8b461, v91, v19 neg_lo:[0,0,1] neg_hi:[0,0,1]
	v_fma_f16 v13, v28, 0x3722, -v15
	v_lshlrev_b32_e32 v15, 5, v18
	v_pk_add_f16 v14, v14, v29
	v_pk_add_f16 v8, v10, v8
	v_pk_fma_f16 v10, 0x2de8b461, v91, v19
	v_pk_add_f16 v12, v12, v7
	v_add_f16_e32 v13, v13, v9
	v_add3_u32 v4, v4, v15, v22
	v_pk_add_f16 v7, v11, v14
	v_pk_add_f16 v8, v10, v8
	v_alignbit_b32 v9, v12, v12, 16
	v_perm_b32 v10, v25, v13, 0x5040100
	v_alignbit_b32 v12, v46, v26, 16
	v_alignbit_b32 v11, v26, v25, 16
	ds_store_b16 v4, v67
	ds_store_b128 v4, v[5:8] offset:2
	ds_store_b128 v4, v[9:12] offset:18
.LBB0_16:
	s_wait_alu 0xfffe
	s_or_b32 exec_lo, exec_lo, s4
	global_wb scope:SCOPE_SE
	s_wait_dscnt 0x0
	s_barrier_signal -1
	s_barrier_wait -1
	global_inv scope:SCOPE_SE
	ds_load_u16 v29, v0
	ds_load_u16 v30, v1 offset:136
	ds_load_u16 v35, v1 offset:612
	;; [unrolled: 1-line block ×11, first 2 shown]
	s_add_nc_u64 s[2:3], s[14:15], s[2:3]
	s_and_saveexec_b32 s0, s1
	s_cbranch_execz .LBB0_18
; %bb.17:
	ds_load_u16 v25, v1 offset:408
	ds_load_u16 v26, v1 offset:1360
	s_wait_dscnt 0x1
	ds_load_u16_d16_hi v25, v1 offset:884
	s_wait_dscnt 0x1
	ds_load_u16_d16_hi v26, v1 offset:1836
.LBB0_18:
	s_wait_alu 0xfffe
	s_or_b32 exec_lo, exec_lo, s0
	v_and_b32_e32 v4, 0xff, v18
	v_add_nc_u32_e32 v23, 0x44, v18
	v_add_nc_u32_e32 v24, 0x88, v18
	;; [unrolled: 1-line block ×3, first 2 shown]
	v_lshrrev_b32_e32 v63, 16, v2
	v_mul_lo_u16 v4, 0xf1, v4
	v_and_b32_e32 v5, 0xff, v23
	v_and_b32_e32 v19, 0xff, v24
	;; [unrolled: 1-line block ×3, first 2 shown]
	s_wait_dscnt 0x1
	v_lshrrev_b32_e32 v64, 16, v25
	v_lshrrev_b16 v42, 12, v4
	v_mul_lo_u16 v4, 0xf1, v5
	v_mul_lo_u16 v7, 0xf1, v19
	v_mul_u32_u24_e32 v28, 0xf0f1, v6
	v_lshrrev_b32_e32 v65, 16, v3
	v_mul_lo_u16 v5, v42, 17
	v_lshrrev_b16 v45, 12, v4
	v_lshrrev_b16 v46, 12, v7
	v_and_b32_e32 v42, 0xffff, v42
	s_wait_dscnt 0x0
	v_lshrrev_b32_e32 v66, 16, v26
	v_sub_nc_u16 v4, v18, v5
	v_mul_lo_u16 v5, v45, 17
	v_mul_lo_u16 v6, v46, 17
	v_and_b32_e32 v45, 0xffff, v45
	v_and_b32_e32 v46, 0xffff, v46
	;; [unrolled: 1-line block ×3, first 2 shown]
	v_lshrrev_b32_e32 v4, 20, v28
	v_sub_nc_u16 v5, v23, v5
	v_sub_nc_u16 v6, v24, v6
	v_mad_u32_u24 v42, 0x88, v42, 0
	v_mul_u32_u24_e32 v7, 3, v56
	v_mul_lo_u16 v4, v4, 17
	v_and_b32_e32 v57, 0xff, v5
	v_and_b32_e32 v58, 0xff, v6
	v_mad_u32_u24 v60, 0x88, v45, 0
	v_lshlrev_b32_e32 v5, 2, v7
	v_sub_nc_u16 v4, v27, v4
	v_mul_u32_u24_e32 v6, 3, v57
	v_lshlrev_b32_e32 v56, 1, v56
	v_mad_u32_u24 v46, 0x88, v46, 0
	global_load_b96 v[10:12], v5, s[8:9]
	v_and_b32_e32 v59, 0xffff, v4
	v_mul_u32_u24_e32 v4, 3, v58
	v_lshlrev_b32_e32 v5, 2, v6
	v_lshlrev_b32_e32 v61, 1, v57
	;; [unrolled: 1-line block ×3, first 2 shown]
	v_mul_u32_u24_e32 v6, 3, v59
	v_lshlrev_b32_e32 v4, 2, v4
	global_load_b96 v[13:15], v5, s[8:9]
	v_add3_u32 v57, v42, v56, v22
	v_add3_u32 v56, v60, v61, v22
	v_lshlrev_b32_e32 v5, 2, v6
	v_add3_u32 v46, v46, v58, v22
	v_lshlrev_b32_e32 v42, 1, v59
	s_clause 0x1
	global_load_b96 v[7:9], v4, s[8:9]
	global_load_b96 v[4:6], v5, s[8:9]
	s_load_b64 s[2:3], s[2:3], 0x0
	v_and_b32_e32 v45, 0xff, v27
	global_wb scope:SCOPE_SE
	s_wait_loadcnt 0x0
	s_wait_kmcnt 0x0
	s_barrier_signal -1
	s_barrier_wait -1
	global_inv scope:SCOPE_SE
	v_lshrrev_b32_e32 v58, 16, v10
	v_lshrrev_b32_e32 v60, 16, v11
	;; [unrolled: 1-line block ×3, first 2 shown]
	s_delay_alu instid0(VALU_DEP_3) | instskip(NEXT) | instid1(VALU_DEP_3)
	v_mul_f16_e32 v67, v43, v58
	v_mul_f16_e32 v68, v34, v60
	s_delay_alu instid0(VALU_DEP_3)
	v_mul_f16_e32 v69, v44, v61
	v_mul_f16_e32 v70, v55, v61
	v_lshrrev_b32_e32 v71, 16, v13
	v_lshrrev_b32_e32 v61, 16, v14
	;; [unrolled: 1-line block ×3, first 2 shown]
	v_mul_f16_e32 v59, v54, v58
	v_fma_f16 v54, v54, v10, -v67
	v_lshrrev_b32_e32 v73, 16, v7
	v_lshrrev_b32_e32 v62, 16, v8
	;; [unrolled: 1-line block ×3, first 2 shown]
	v_fma_f16 v67, v38, v11, -v68
	v_fma_f16 v55, v55, v12, -v69
	v_fmac_f16_e32 v70, v44, v12
	v_mul_f16_e32 v44, v35, v71
	v_mul_f16_e32 v12, v50, v71
	;; [unrolled: 1-line block ×4, first 2 shown]
	v_lshrrev_b32_e32 v75, 16, v4
	v_lshrrev_b32_e32 v76, 16, v6
	v_fmac_f16_e32 v59, v43, v10
	v_mul_f16_e32 v71, v53, v72
	v_mul_f16_e32 v72, v36, v73
	v_mul_f16_e32 v10, v51, v73
	v_mul_f16_e32 v73, v32, v62
	v_mul_f16_e32 v77, v39, v74
	v_mul_f16_e32 v74, v52, v74
	v_fma_f16 v44, v50, v13, -v44
	v_fmac_f16_e32 v12, v35, v13
	v_fma_f16 v13, v37, v14, -v68
	v_fma_f16 v35, v53, v15, -v69
	v_mul_f16_e32 v78, v64, v75
	v_mul_f16_e32 v43, v63, v75
	v_mul_f16_e32 v75, v66, v76
	v_mul_f16_e32 v76, v65, v76
	v_fmac_f16_e32 v71, v41, v15
	v_fma_f16 v41, v51, v7, -v72
	v_fmac_f16_e32 v10, v36, v7
	v_fma_f16 v50, v40, v8, -v73
	v_fma_f16 v51, v52, v9, -v77
	v_sub_f16_e32 v52, v49, v67
	v_sub_f16_e32 v7, v54, v55
	v_fmac_f16_e32 v74, v39, v9
	v_sub_f16_e32 v55, v47, v13
	v_sub_f16_e32 v9, v44, v35
	v_fma_f16 v39, v63, v4, -v78
	v_fmac_f16_e32 v43, v64, v4
	v_fma_f16 v4, v65, v6, -v75
	v_fmac_f16_e32 v76, v66, v6
	v_fma_f16 v49, v49, 2.0, -v52
	v_fma_f16 v53, v54, 2.0, -v7
	v_sub_f16_e32 v50, v48, v50
	v_sub_f16_e32 v6, v41, v51
	;; [unrolled: 1-line block ×3, first 2 shown]
	v_fma_f16 v47, v47, 2.0, -v55
	v_fma_f16 v44, v44, 2.0, -v9
	v_sub_f16_e32 v15, v12, v71
	v_sub_f16_e32 v13, v10, v74
	;; [unrolled: 1-line block ×3, first 2 shown]
	v_fma_f16 v48, v48, 2.0, -v50
	v_fma_f16 v41, v41, 2.0, -v6
	v_sub_f16_e32 v54, v52, v36
	v_sub_f16_e32 v44, v47, v44
	v_lshrrev_b32_e32 v58, 16, v5
	v_sub_f16_e32 v4, v39, v4
	v_sub_f16_e32 v35, v43, v76
	;; [unrolled: 1-line block ×5, first 2 shown]
	v_fma_f16 v49, v49, 2.0, -v51
	v_fma_f16 v52, v52, 2.0, -v54
	;; [unrolled: 1-line block ×6, first 2 shown]
	ds_store_b16 v57, v49
	ds_store_b16 v57, v52 offset:34
	ds_store_b16 v57, v51 offset:68
	ds_store_b16 v57, v54 offset:102
	ds_store_b16 v56, v47
	ds_store_b16 v56, v55 offset:34
	ds_store_b16 v56, v44 offset:68
	ds_store_b16 v56, v53 offset:102
	ds_store_b16 v46, v48
	ds_store_b16 v46, v50 offset:34
	ds_store_b16 v46, v41 offset:68
	ds_store_b16 v46, v63 offset:102
	s_and_saveexec_b32 s0, s1
	s_cbranch_execz .LBB0_20
; %bb.19:
	v_mul_f16_e32 v41, v26, v58
	v_mul_lo_u16 v44, 0xf1, v45
	v_fma_f16 v39, v39, 2.0, -v4
	s_delay_alu instid0(VALU_DEP_3) | instskip(NEXT) | instid1(VALU_DEP_3)
	v_fma_f16 v41, v3, v5, -v41
	v_lshrrev_b16 v44, 12, v44
	s_delay_alu instid0(VALU_DEP_2) | instskip(NEXT) | instid1(VALU_DEP_2)
	v_sub_f16_e32 v41, v2, v41
	v_and_b32_e32 v44, 0xffff, v44
	s_delay_alu instid0(VALU_DEP_2) | instskip(NEXT) | instid1(VALU_DEP_2)
	v_fma_f16 v2, v2, 2.0, -v41
	v_mad_u32_u24 v44, 0x88, v44, 0
	v_sub_f16_e32 v47, v41, v35
	s_delay_alu instid0(VALU_DEP_3) | instskip(NEXT) | instid1(VALU_DEP_3)
	v_sub_f16_e32 v39, v2, v39
	v_add3_u32 v44, v44, v42, v22
	s_delay_alu instid0(VALU_DEP_3) | instskip(NEXT) | instid1(VALU_DEP_3)
	v_fma_f16 v41, v41, 2.0, -v47
	v_fma_f16 v2, v2, 2.0, -v39
	ds_store_b16 v44, v2
	ds_store_b16 v44, v41 offset:34
	ds_store_b16 v44, v39 offset:68
	;; [unrolled: 1-line block ×3, first 2 shown]
.LBB0_20:
	s_wait_alu 0xfffe
	s_or_b32 exec_lo, exec_lo, s0
	v_mul_f16_e32 v2, v38, v60
	v_mul_f16_e32 v37, v37, v61
	;; [unrolled: 1-line block ×3, first 2 shown]
	v_fma_f16 v36, v59, 2.0, -v36
	v_fma_f16 v10, v10, 2.0, -v13
	v_fmac_f16_e32 v2, v34, v11
	v_fmac_f16_e32 v37, v33, v14
	;; [unrolled: 1-line block ×3, first 2 shown]
	v_fma_f16 v11, v12, 2.0, -v15
	global_wb scope:SCOPE_SE
	s_wait_dscnt 0x0
	v_sub_f16_e32 v2, v29, v2
	v_sub_f16_e32 v33, v30, v37
	;; [unrolled: 1-line block ×3, first 2 shown]
	s_barrier_signal -1
	s_barrier_wait -1
	v_fma_f16 v8, v29, 2.0, -v2
	v_fma_f16 v12, v30, 2.0, -v33
	;; [unrolled: 1-line block ×3, first 2 shown]
	v_add_f16_e32 v37, v2, v7
	v_add_f16_e32 v38, v33, v9
	v_sub_f16_e32 v36, v8, v36
	v_sub_f16_e32 v40, v12, v11
	v_add_f16_e32 v41, v34, v6
	v_sub_f16_e32 v44, v39, v10
	global_inv scope:SCOPE_SE
	v_fma_f16 v47, v8, 2.0, -v36
	v_fma_f16 v48, v12, 2.0, -v40
	ds_load_u16 v14, v0
	ds_load_u16 v15, v1 offset:136
	ds_load_u16 v9, v1 offset:272
	ds_load_u16 v10, v1 offset:408
	ds_load_u16 v6, v1 offset:544
	ds_load_u16 v7, v1 offset:680
	ds_load_u16 v31, v1 offset:952
	ds_load_u16 v8, v1 offset:816
	ds_load_u16 v32, v1 offset:1088
	ds_load_u16 v30, v1 offset:1224
	ds_load_u16 v29, v1 offset:1360
	ds_load_u16 v13, v1 offset:1496
	ds_load_u16 v12, v1 offset:1632
	ds_load_u16 v11, v1 offset:1768
	v_fma_f16 v2, v2, 2.0, -v37
	v_fma_f16 v33, v33, 2.0, -v38
	;; [unrolled: 1-line block ×4, first 2 shown]
	global_wb scope:SCOPE_SE
	s_wait_dscnt 0x0
	s_barrier_signal -1
	s_barrier_wait -1
	global_inv scope:SCOPE_SE
	ds_store_b16 v57, v47
	ds_store_b16 v57, v2 offset:34
	ds_store_b16 v57, v36 offset:68
	ds_store_b16 v57, v37 offset:102
	ds_store_b16 v56, v48
	ds_store_b16 v56, v33 offset:34
	ds_store_b16 v56, v40 offset:68
	ds_store_b16 v56, v38 offset:102
	;; [unrolled: 4-line block ×3, first 2 shown]
	s_and_saveexec_b32 s0, s1
	s_cbranch_execz .LBB0_22
; %bb.21:
	v_mul_f16_e32 v2, v3, v58
	v_mul_lo_u16 v3, 0xf1, v45
	s_delay_alu instid0(VALU_DEP_2) | instskip(NEXT) | instid1(VALU_DEP_2)
	v_fmac_f16_e32 v2, v26, v5
	v_lshrrev_b16 v3, 12, v3
	v_fma_f16 v5, v43, 2.0, -v35
	s_delay_alu instid0(VALU_DEP_3) | instskip(NEXT) | instid1(VALU_DEP_3)
	v_sub_f16_e32 v2, v25, v2
	v_and_b32_e32 v3, 0xffff, v3
	s_delay_alu instid0(VALU_DEP_2) | instskip(NEXT) | instid1(VALU_DEP_2)
	v_fma_f16 v25, v25, 2.0, -v2
	v_mad_u32_u24 v3, 0x88, v3, 0
	v_add_f16_e32 v4, v2, v4
	s_delay_alu instid0(VALU_DEP_3) | instskip(NEXT) | instid1(VALU_DEP_3)
	v_sub_f16_e32 v5, v25, v5
	v_add3_u32 v3, v3, v42, v22
	s_delay_alu instid0(VALU_DEP_3) | instskip(NEXT) | instid1(VALU_DEP_3)
	v_fma_f16 v2, v2, 2.0, -v4
	v_fma_f16 v25, v25, 2.0, -v5
	ds_store_b16 v3, v25
	ds_store_b16 v3, v2 offset:34
	ds_store_b16 v3, v5 offset:68
	;; [unrolled: 1-line block ×3, first 2 shown]
.LBB0_22:
	s_wait_alu 0xfffe
	s_or_b32 exec_lo, exec_lo, s0
	v_add_nc_u32_e32 v2, 0x110, v18
	v_mul_lo_u16 v3, 0x79, v19
	v_mov_b32_e32 v19, 0
	v_add_nc_u32_e32 v5, 0x154, v18
	v_add_nc_u32_e32 v4, 0x198, v18
	global_wb scope:SCOPE_SE
	s_wait_dscnt 0x0
	v_lshrrev_b16 v3, 13, v3
	v_lshlrev_b64_e32 v[25:26], 2, v[18:19]
	v_lshrrev_b32_e32 v19, 22, v28
	v_and_b32_e32 v28, 0xffff, v2
	v_and_b32_e32 v33, 0xffff, v5
	;; [unrolled: 1-line block ×3, first 2 shown]
	v_mul_lo_u16 v3, 0x44, v3
	v_add_co_u32 v25, s0, s8, v25
	v_mul_lo_u16 v19, 0x44, v19
	s_wait_alu 0xf1ff
	v_add_co_ci_u32_e64 v26, s0, s9, v26, s0
	v_mul_u32_u24_e32 v28, 0xf0f1, v28
	s_barrier_signal -1
	v_sub_nc_u16 v19, v27, v19
	v_mul_u32_u24_e32 v27, 0xf0f1, v33
	s_barrier_wait -1
	global_inv scope:SCOPE_SE
	global_load_b32 v25, v[25:26], off offset:204
	v_lshrrev_b32_e32 v26, 22, v28
	v_mul_u32_u24_e32 v28, 0xf0f1, v34
	v_sub_nc_u16 v3, v24, v3
	v_lshrrev_b32_e32 v27, 22, v27
	v_and_b32_e32 v19, 0xffff, v19
	v_mul_lo_u16 v26, 0x44, v26
	v_lshrrev_b32_e32 v28, 22, v28
	v_and_b32_e32 v3, 0xff, v3
	v_mul_lo_u16 v27, 0x44, v27
	v_lshlrev_b32_e32 v34, 2, v19
	v_sub_nc_u16 v26, v2, v26
	v_mul_lo_u16 v28, 0x44, v28
	v_lshlrev_b32_e32 v33, 2, v3
	v_sub_nc_u16 v5, v5, v27
	s_clause 0x1
	global_load_b32 v33, v33, s[8:9] offset:204
	global_load_b32 v34, v34, s[8:9] offset:204
	v_sub_nc_u16 v27, v4, v28
	v_and_b32_e32 v26, 0xffff, v26
	v_and_b32_e32 v5, 0xffff, v5
	v_lshlrev_b32_e32 v3, 1, v3
	v_lshlrev_b32_e32 v19, 1, v19
	v_and_b32_e32 v27, 0xffff, v27
	v_lshlrev_b32_e32 v28, 2, v26
	v_lshlrev_b32_e32 v35, 2, v5
	v_add3_u32 v52, 0, v3, v22
	v_lshlrev_b32_e32 v3, 1, v26
	v_lshlrev_b32_e32 v36, 2, v27
	s_clause 0x2
	global_load_b32 v28, v28, s[8:9] offset:204
	global_load_b32 v35, v35, s[8:9] offset:204
	;; [unrolled: 1-line block ×3, first 2 shown]
	ds_load_u16 v37, v0
	ds_load_u16 v38, v1 offset:136
	ds_load_u16 v39, v1 offset:272
	;; [unrolled: 1-line block ×13, first 2 shown]
	v_lshlrev_b32_e32 v5, 1, v5
	v_add3_u32 v51, 0, v19, v22
	v_lshlrev_b32_e32 v19, 1, v27
	v_add3_u32 v27, 0, v3, v22
	global_wb scope:SCOPE_SE
	s_wait_loadcnt_dscnt 0x0
	v_add3_u32 v53, 0, v5, v22
	s_barrier_signal -1
	v_add3_u32 v55, 0, v19, v22
	s_barrier_wait -1
	global_inv scope:SCOPE_SE
	v_lshrrev_b32_e32 v26, 16, v25
	s_delay_alu instid0(VALU_DEP_1) | instskip(SKIP_3) | instid1(VALU_DEP_4)
	v_mul_f16_e32 v5, v31, v26
	v_mul_f16_e32 v54, v45, v26
	;; [unrolled: 1-line block ×4, first 2 shown]
	v_fmac_f16_e32 v5, v43, v25
	s_delay_alu instid0(VALU_DEP_4) | instskip(NEXT) | instid1(VALU_DEP_4)
	v_fma_f16 v19, v32, v25, -v54
	v_fma_f16 v3, v31, v25, -v3
	s_delay_alu instid0(VALU_DEP_4) | instskip(NEXT) | instid1(VALU_DEP_4)
	v_fmac_f16_e32 v26, v45, v25
	v_sub_f16_e32 v31, v37, v5
	s_delay_alu instid0(VALU_DEP_4)
	v_sub_f16_e32 v5, v15, v19
	v_lshrrev_b32_e32 v22, 16, v33
	v_lshrrev_b32_e32 v25, 16, v34
	v_sub_f16_e32 v3, v14, v3
	v_sub_f16_e32 v26, v38, v26
	v_fma_f16 v15, v15, 2.0, -v5
	v_mul_f16_e32 v19, v46, v22
	v_mul_f16_e32 v32, v47, v25
	;; [unrolled: 1-line block ×4, first 2 shown]
	v_fma_f16 v14, v14, 2.0, -v3
	v_fma_f16 v19, v30, v33, -v19
	v_fma_f16 v29, v29, v34, -v32
	v_fmac_f16_e32 v22, v46, v33
	v_lshrrev_b32_e32 v30, 16, v28
	v_lshrrev_b32_e32 v32, 16, v35
	v_lshrrev_b32_e32 v33, 16, v36
	v_fmac_f16_e32 v25, v47, v34
	v_sub_f16_e32 v19, v9, v19
	v_mul_f16_e32 v34, v48, v30
	v_mul_f16_e32 v43, v49, v32
	;; [unrolled: 1-line block ×5, first 2 shown]
	v_fma_f16 v13, v13, v28, -v34
	v_fma_f16 v12, v12, v35, -v43
	v_mul_f16_e32 v33, v11, v33
	v_fma_f16 v11, v11, v36, -v45
	v_sub_f16_e32 v46, v39, v22
	v_sub_f16_e32 v22, v10, v29
	;; [unrolled: 1-line block ×4, first 2 shown]
	v_fma_f16 v9, v9, 2.0, -v19
	v_sub_f16_e32 v11, v8, v11
	v_fma_f16 v10, v10, 2.0, -v22
	ds_store_b16 v1, v14
	ds_store_b16 v1, v3 offset:136
	ds_store_b16 v1, v15 offset:272
	;; [unrolled: 1-line block ×7, first 2 shown]
	v_fma_f16 v3, v6, 2.0, -v13
	v_fma_f16 v5, v7, 2.0, -v12
	;; [unrolled: 1-line block ×3, first 2 shown]
	ds_store_b16 v27, v3 offset:1088
	ds_store_b16 v27, v13 offset:1224
	;; [unrolled: 1-line block ×6, first 2 shown]
	global_wb scope:SCOPE_SE
	s_wait_dscnt 0x0
	s_barrier_signal -1
	s_barrier_wait -1
	global_inv scope:SCOPE_SE
	ds_load_u16 v3, v0
	ds_load_u16 v6, v1 offset:1088
	ds_load_u16 v12, v1 offset:952
	;; [unrolled: 1-line block ×13, first 2 shown]
	v_fmac_f16_e32 v30, v48, v28
	v_fmac_f16_e32 v32, v49, v35
	;; [unrolled: 1-line block ×3, first 2 shown]
	v_fma_f16 v37, v37, 2.0, -v31
	v_sub_f16_e32 v25, v40, v25
	v_sub_f16_e32 v30, v41, v30
	;; [unrolled: 1-line block ×4, first 2 shown]
	v_fma_f16 v38, v38, 2.0, -v26
	v_fma_f16 v28, v39, 2.0, -v46
	;; [unrolled: 1-line block ×6, first 2 shown]
	global_wb scope:SCOPE_SE
	s_wait_dscnt 0x0
	s_barrier_signal -1
	s_barrier_wait -1
	global_inv scope:SCOPE_SE
	ds_store_b16 v1, v37
	ds_store_b16 v1, v31 offset:136
	ds_store_b16 v1, v38 offset:272
	;; [unrolled: 1-line block ×13, first 2 shown]
	global_wb scope:SCOPE_SE
	s_wait_dscnt 0x0
	s_barrier_signal -1
	s_barrier_wait -1
	global_inv scope:SCOPE_SE
	s_and_saveexec_b32 s0, vcc_lo
	s_cbranch_execz .LBB0_24
; %bb.23:
	v_mul_u32_u24_e32 v25, 6, v23
	v_add_nc_u32_e32 v55, 0x2a8, v18
	v_mul_u32_u24_e32 v30, 6, v18
	v_add_nc_u32_e32 v56, 0x330, v18
	v_add_nc_u32_e32 v54, 0x220, v18
	v_mul_lo_u32 v49, s3, v20
	v_mad_co_u64_u32 v[45:46], null, s16, v55, 0
	v_lshlrev_b32_e32 v29, 2, v25
	v_mad_co_u64_u32 v[47:48], null, s16, v56, 0
	v_lshlrev_b32_e32 v35, 2, v30
	v_mul_lo_u32 v50, s2, v21
	s_clause 0x3
	global_load_b128 v[25:28], v29, s[8:9] offset:476
	global_load_b64 v[33:34], v29, s[8:9] offset:492
	global_load_b128 v[29:32], v35, s[8:9] offset:476
	global_load_b64 v[35:36], v35, s[8:9] offset:492
	v_mad_co_u64_u32 v[20:21], null, s2, v20, 0
	ds_load_u16 v57, v1 offset:952
	ds_load_u16 v58, v1 offset:816
	;; [unrolled: 1-line block ×13, first 2 shown]
	ds_load_u16 v70, v0
	v_mad_co_u64_u32 v[0:1], null, s16, v18, 0
	v_mad_co_u64_u32 v[37:38], null, s16, v24, 0
	;; [unrolled: 1-line block ×3, first 2 shown]
	v_mul_hi_u32 v51, 0xf0f0f0f1, v23
	v_mad_co_u64_u32 v[41:42], null, s16, v4, 0
	v_mad_co_u64_u32 v[43:44], null, s16, v54, 0
	v_add3_u32 v21, v21, v50, v49
	v_mad_co_u64_u32 v[49:50], null, s17, v18, v[1:2]
	v_lshrrev_b32_e32 v71, 7, v51
	v_mad_co_u64_u32 v[50:51], null, s17, v24, v[38:39]
	v_mad_co_u64_u32 v[51:52], null, s17, v2, v[40:41]
	v_dual_mov_b32 v1, v44 :: v_dual_mov_b32 v2, v46
	v_mad_co_u64_u32 v[52:53], null, s17, v4, v[42:43]
	v_mov_b32_e32 v4, v48
	v_lshlrev_b64_e32 v[20:21], 2, v[20:21]
	v_mad_u32_u24 v18, 0x330, v71, v23
	v_mad_co_u64_u32 v[23:24], null, s17, v54, v[1:2]
	v_mov_b32_e32 v38, v50
	v_mad_co_u64_u32 v[53:54], null, s17, v55, v[2:3]
	v_mov_b32_e32 v1, v49
	v_mad_co_u64_u32 v[54:55], null, s17, v56, v[4:5]
	v_lshlrev_b64_e32 v[16:17], 2, v[16:17]
	v_mad_co_u64_u32 v[55:56], null, s16, v18, 0
	v_add_co_u32 v2, vcc_lo, s6, v20
	s_wait_alu 0xfffd
	v_add_co_ci_u32_e32 v24, vcc_lo, s7, v21, vcc_lo
	v_lshlrev_b64_e32 v[0:1], 2, v[0:1]
	v_dual_mov_b32 v40, v51 :: v_dual_add_nc_u32 v71, 0x110, v18
	v_add_co_u32 v74, vcc_lo, v2, v16
	v_add_nc_u32_e32 v4, 0x88, v18
	v_dual_mov_b32 v42, v52 :: v_dual_add_nc_u32 v73, 0x220, v18
	s_wait_alu 0xfffd
	v_add_co_ci_u32_e32 v75, vcc_lo, v24, v17, vcc_lo
	v_lshlrev_b64_e32 v[16:17], 2, v[37:38]
	v_mov_b32_e32 v46, v53
	v_mov_b32_e32 v2, v56
	v_lshlrev_b64_e32 v[37:38], 2, v[39:40]
	v_add_co_u32 v0, vcc_lo, v74, v0
	v_mad_co_u64_u32 v[20:21], null, s16, v4, 0
	v_mov_b32_e32 v44, v23
	v_lshlrev_b64_e32 v[23:24], 2, v[41:42]
	v_lshlrev_b64_e32 v[41:42], 2, v[45:46]
	v_mad_co_u64_u32 v[45:46], null, s17, v18, v[2:3]
	s_wait_alu 0xfffd
	v_add_co_ci_u32_e32 v1, vcc_lo, v75, v1, vcc_lo
	v_add_co_u32 v16, vcc_lo, v74, v16
	s_wait_alu 0xfffd
	v_add_co_ci_u32_e32 v17, vcc_lo, v75, v17, vcc_lo
	v_lshlrev_b64_e32 v[39:40], 2, v[43:44]
	v_add_co_u32 v37, vcc_lo, v74, v37
	v_mov_b32_e32 v48, v54
	s_wait_alu 0xfffd
	v_add_co_ci_u32_e32 v38, vcc_lo, v75, v38, vcc_lo
	v_mov_b32_e32 v2, v21
	v_add_co_u32 v23, vcc_lo, v74, v23
	v_mov_b32_e32 v56, v45
	s_wait_alu 0xfffd
	v_add_co_ci_u32_e32 v24, vcc_lo, v75, v24, vcc_lo
	v_lshlrev_b64_e32 v[43:44], 2, v[47:48]
	v_add_co_u32 v39, vcc_lo, v74, v39
	v_mad_co_u64_u32 v[46:47], null, s17, v4, v[2:3]
	s_wait_alu 0xfffd
	v_add_co_ci_u32_e32 v40, vcc_lo, v75, v40, vcc_lo
	v_add_co_u32 v41, vcc_lo, v74, v41
	v_lshlrev_b64_e32 v[47:48], 2, v[55:56]
	s_wait_alu 0xfffd
	v_add_co_ci_u32_e32 v42, vcc_lo, v75, v42, vcc_lo
	v_add_co_u32 v43, vcc_lo, v74, v43
	s_wait_alu 0xfffd
	v_add_co_ci_u32_e32 v44, vcc_lo, v75, v44, vcc_lo
	v_add_co_u32 v45, vcc_lo, v74, v47
	v_mov_b32_e32 v21, v46
	s_wait_alu 0xfffd
	v_add_co_ci_u32_e32 v46, vcc_lo, v75, v48, vcc_lo
	v_mad_co_u64_u32 v[49:50], null, s16, v71, 0
	v_add_nc_u32_e32 v72, 0x198, v18
	v_lshlrev_b64_e32 v[20:21], 2, v[20:21]
	s_delay_alu instid0(VALU_DEP_2) | instskip(NEXT) | instid1(VALU_DEP_2)
	v_mad_co_u64_u32 v[51:52], null, s16, v72, 0
	v_add_co_u32 v20, vcc_lo, v74, v20
	s_wait_alu 0xfffd
	s_delay_alu instid0(VALU_DEP_3)
	v_add_co_ci_u32_e32 v21, vcc_lo, v75, v21, vcc_lo
	s_wait_loadcnt 0x2
	v_lshrrev_b32_e32 v53, 16, v33
	v_lshrrev_b32_e32 v2, 16, v25
	;; [unrolled: 1-line block ×6, first 2 shown]
	s_wait_loadcnt 0x1
	v_lshrrev_b32_e32 v55, 16, v29
	v_lshrrev_b32_e32 v56, 16, v30
	;; [unrolled: 1-line block ×4, first 2 shown]
	s_wait_loadcnt 0x0
	v_lshrrev_b32_e32 v78, 16, v35
	v_lshrrev_b32_e32 v79, 16, v36
	s_wait_dscnt 0x9
	v_mul_f16_e32 v80, v61, v2
	s_wait_dscnt 0x7
	v_mul_f16_e32 v81, v63, v54
	;; [unrolled: 2-line block ×3, first 2 shown]
	v_mul_f16_e32 v83, v57, v47
	v_mul_f16_e32 v84, v59, v4
	;; [unrolled: 1-line block ×11, first 2 shown]
	s_wait_dscnt 0x2
	v_mul_f16_e32 v88, v68, v77
	v_mul_f16_e32 v89, v58, v76
	;; [unrolled: 1-line block ×10, first 2 shown]
	v_fma_f16 v14, v14, v25, -v80
	v_fma_f16 v19, v19, v34, -v81
	;; [unrolled: 1-line block ×6, first 2 shown]
	v_fmac_f16_e32 v54, v34, v63
	v_fmac_f16_e32 v2, v25, v61
	;; [unrolled: 1-line block ×6, first 2 shown]
	v_fma_f16 v9, v9, v29, -v86
	v_fma_f16 v11, v11, v36, -v87
	;; [unrolled: 1-line block ×6, first 2 shown]
	v_fmac_f16_e32 v79, v36, v64
	v_fmac_f16_e32 v55, v29, v62
	;; [unrolled: 1-line block ×6, first 2 shown]
	v_sub_f16_e32 v25, v14, v19
	v_sub_f16_e32 v26, v22, v12
	;; [unrolled: 1-line block ×3, first 2 shown]
	v_add_f16_e32 v28, v2, v54
	v_add_f16_e32 v29, v48, v47
	;; [unrolled: 1-line block ×6, first 2 shown]
	v_sub_f16_e32 v2, v2, v54
	v_sub_f16_e32 v15, v48, v47
	;; [unrolled: 1-line block ×5, first 2 shown]
	v_add_f16_e32 v32, v55, v79
	v_add_f16_e32 v34, v56, v78
	;; [unrolled: 1-line block ×5, first 2 shown]
	v_sub_f16_e32 v31, v8, v10
	v_add_f16_e32 v33, v77, v76
	v_sub_f16_e32 v8, v55, v79
	v_sub_f16_e32 v10, v77, v76
	;; [unrolled: 1-line block ×5, first 2 shown]
	v_add_f16_e32 v26, v26, v27
	v_sub_f16_e32 v48, v29, v30
	v_add_f16_e32 v53, v28, v30
	v_sub_f16_e32 v54, v14, v12
	v_sub_f16_e32 v55, v12, v13
	v_add_f16_e32 v56, v14, v13
	v_sub_f16_e32 v57, v2, v15
	;; [unrolled: 3-line block ×3, first 2 shown]
	v_sub_f16_e32 v4, v4, v2
	v_add_f16_e32 v61, v32, v34
	v_add_f16_e32 v64, v9, v7
	v_sub_f16_e32 v47, v28, v29
	v_sub_f16_e32 v28, v30, v28
	;; [unrolled: 1-line block ×5, first 2 shown]
	v_add_f16_e32 v22, v22, v31
	v_sub_f16_e32 v59, v32, v33
	v_sub_f16_e32 v60, v33, v34
	;; [unrolled: 1-line block ×6, first 2 shown]
	v_add_f16_e32 v10, v10, v11
	v_sub_f16_e32 v31, v31, v19
	v_sub_f16_e32 v32, v34, v32
	;; [unrolled: 1-line block ×4, first 2 shown]
	v_mul_f16_e32 v11, 0xb846, v36
	v_mul_f16_e32 v34, 0x2b26, v48
	v_add_f16_e32 v29, v29, v53
	v_mul_f16_e32 v36, 0x3a52, v54
	v_mul_f16_e32 v48, 0x2b26, v55
	v_add_f16_e32 v12, v12, v56
	v_mul_f16_e32 v53, 0xb846, v58
	v_add_f16_e32 v2, v2, v15
	v_mul_f16_e32 v15, 0x3b00, v27
	v_mul_f16_e32 v55, 0x3b00, v4
	v_add_f16_e32 v33, v33, v61
	v_add_f16_e32 v6, v6, v64
	;; [unrolled: 1-line block ×3, first 2 shown]
	v_mul_f16_e32 v26, 0x3a52, v47
	v_mul_f16_e32 v30, 0xb846, v30
	;; [unrolled: 1-line block ×5, first 2 shown]
	v_add_f16_e32 v8, v8, v10
	v_mul_f16_e32 v10, 0x3b00, v31
	v_mul_f16_e32 v63, 0x3b00, v9
	v_fmamk_f16 v64, v35, 0x3574, v11
	s_wait_dscnt 0x1
	v_add_f16_e32 v66, v69, v29
	v_fmamk_f16 v54, v54, 0x3a52, v48
	v_add_f16_e32 v5, v5, v12
	v_fmamk_f16 v67, v57, 0x3574, v53
	v_fma_f16 v15, v35, 0xb574, -v15
	v_fma_f16 v35, v13, 0xb9e0, -v36
	;; [unrolled: 1-line block ×5, first 2 shown]
	s_wait_dscnt 0x0
	v_add_f16_e32 v48, v70, v33
	v_add_f16_e32 v3, v3, v6
	;; [unrolled: 1-line block ×3, first 2 shown]
	v_mul_f16_e32 v22, 0x3a52, v59
	v_mul_f16_e32 v58, 0x3a52, v62
	v_fmamk_f16 v47, v47, 0x3a52, v34
	v_fma_f16 v26, v28, 0xb9e0, -v26
	v_fma_f16 v28, v28, 0x39e0, -v34
	;; [unrolled: 1-line block ×3, first 2 shown]
	v_fmamk_f16 v27, v14, 0x3574, v30
	v_fmamk_f16 v34, v59, 0x3a52, v56
	;; [unrolled: 1-line block ×4, first 2 shown]
	v_fma_f16 v10, v14, 0xb574, -v10
	v_fma_f16 v57, v65, 0xb574, -v63
	;; [unrolled: 1-line block ×4, first 2 shown]
	v_fmamk_f16 v29, v29, 0xbcab, v66
	v_fmamk_f16 v12, v12, 0xbcab, v5
	v_fmac_f16_e32 v67, 0x370e, v2
	v_fmac_f16_e32 v36, 0x370e, v2
	;; [unrolled: 1-line block ×3, first 2 shown]
	v_fmamk_f16 v2, v33, 0xbcab, v48
	v_fmamk_f16 v6, v6, 0xbcab, v3
	v_fma_f16 v14, v32, 0xb9e0, -v22
	v_fma_f16 v22, v7, 0xb9e0, -v58
	;; [unrolled: 1-line block ×4, first 2 shown]
	v_fmac_f16_e32 v64, 0x370e, v25
	v_fmac_f16_e32 v15, 0x370e, v25
	;; [unrolled: 1-line block ×9, first 2 shown]
	v_pack_b32_f16 v3, v3, v48
	v_add_f16_e32 v8, v47, v29
	v_add_f16_e32 v19, v54, v12
	;; [unrolled: 1-line block ×12, first 2 shown]
	global_store_b32 v[0:1], v3, off
	v_sub_f16_e32 v35, v28, v11
	v_add_f16_e32 v28, v11, v28
	v_add_f16_e32 v0, v27, v13
	v_sub_f16_e32 v11, v13, v27
	v_add_f16_e32 v13, v55, v29
	v_add_f16_e32 v3, v10, v14
	;; [unrolled: 3-line block ×3, first 2 shown]
	v_sub_f16_e32 v32, v19, v67
	v_add_f16_e32 v47, v4, v12
	v_sub_f16_e32 v48, v12, v4
	v_sub_f16_e32 v7, v8, v64
	v_add_f16_e32 v8, v67, v19
	v_sub_f16_e32 v4, v2, v30
	v_add_f16_e32 v2, v30, v2
	;; [unrolled: 2-line block ×3, first 2 shown]
	v_sub_f16_e32 v9, v22, v57
	v_sub_f16_e32 v1, v29, v55
	v_pack_b32_f16 v11, v13, v11
	v_pack_b32_f16 v10, v14, v10
	;; [unrolled: 1-line block ×7, first 2 shown]
	s_clause 0x6
	global_store_b32 v[16:17], v11, off
	global_store_b32 v[37:38], v10, off
	global_store_b32 v[23:24], v2, off
	global_store_b32 v[39:40], v4, off
	global_store_b32 v[41:42], v3, off
	global_store_b32 v[43:44], v0, off
	global_store_b32 v[45:46], v5, off
	v_mov_b32_e32 v3, v52
	v_mad_co_u64_u32 v[1:2], null, s16, v73, 0
	v_mov_b32_e32 v0, v50
	v_add_nc_u32_e32 v10, 0x2a8, v18
	v_pack_b32_f16 v8, v8, v7
	v_add_nc_u32_e32 v13, 0x330, v18
	v_add_f16_e32 v33, v15, v25
	v_sub_f16_e32 v12, v25, v15
	v_mad_co_u64_u32 v[4:5], null, s17, v71, v[0:1]
	v_mov_b32_e32 v0, v2
	global_store_b32 v[20:21], v8, off
	v_mad_co_u64_u32 v[8:9], null, s16, v13, 0
	v_add_f16_e32 v15, v36, v26
	v_sub_f16_e32 v34, v26, v36
	v_mad_co_u64_u32 v[5:6], null, s17, v72, v[3:4]
	v_mad_co_u64_u32 v[6:7], null, s16, v10, 0
	;; [unrolled: 1-line block ×3, first 2 shown]
	v_mov_b32_e32 v50, v4
	v_pack_b32_f16 v15, v15, v12
	v_mov_b32_e32 v52, v5
	v_mov_b32_e32 v0, v7
	s_delay_alu instid0(VALU_DEP_4) | instskip(NEXT) | instid1(VALU_DEP_2)
	v_lshlrev_b64_e32 v[3:4], 2, v[49:50]
	v_mad_co_u64_u32 v[10:11], null, s17, v10, v[0:1]
	v_lshlrev_b64_e32 v[1:2], 2, v[1:2]
	v_mov_b32_e32 v0, v9
	v_lshlrev_b64_e32 v[11:12], 2, v[51:52]
	v_add_co_u32 v3, vcc_lo, v74, v3
	s_wait_alu 0xfffd
	v_add_co_ci_u32_e32 v4, vcc_lo, v75, v4, vcc_lo
	v_mad_co_u64_u32 v[13:14], null, s17, v13, v[0:1]
	v_mov_b32_e32 v7, v10
	v_add_co_u32 v10, vcc_lo, v74, v11
	s_wait_alu 0xfffd
	v_add_co_ci_u32_e32 v11, vcc_lo, v75, v12, vcc_lo
	s_delay_alu instid0(VALU_DEP_3) | instskip(SKIP_4) | instid1(VALU_DEP_3)
	v_lshlrev_b64_e32 v[5:6], 2, v[6:7]
	v_mov_b32_e32 v9, v13
	v_add_co_u32 v0, vcc_lo, v74, v1
	s_wait_alu 0xfffd
	v_add_co_ci_u32_e32 v1, vcc_lo, v75, v2, vcc_lo
	v_lshlrev_b64_e32 v[7:8], 2, v[8:9]
	v_add_co_u32 v5, vcc_lo, v74, v5
	v_pack_b32_f16 v12, v48, v28
	s_wait_alu 0xfffd
	v_add_co_ci_u32_e32 v6, vcc_lo, v75, v6, vcc_lo
	v_pack_b32_f16 v2, v47, v35
	v_add_co_u32 v7, vcc_lo, v74, v7
	v_pack_b32_f16 v9, v34, v33
	s_wait_alu 0xfffd
	v_add_co_ci_u32_e32 v8, vcc_lo, v75, v8, vcc_lo
	v_pack_b32_f16 v13, v32, v31
	s_clause 0x4
	global_store_b32 v[3:4], v15, off
	global_store_b32 v[10:11], v12, off
	;; [unrolled: 1-line block ×5, first 2 shown]
.LBB0_24:
	s_nop 0
	s_sendmsg sendmsg(MSG_DEALLOC_VGPRS)
	s_endpgm
	.section	.rodata,"a",@progbits
	.p2align	6, 0x0
	.amdhsa_kernel fft_rtc_fwd_len952_factors_17_4_2_7_wgs_204_tpt_68_halfLds_half_op_CI_CI_sbrr_dirReg
		.amdhsa_group_segment_fixed_size 0
		.amdhsa_private_segment_fixed_size 0
		.amdhsa_kernarg_size 104
		.amdhsa_user_sgpr_count 2
		.amdhsa_user_sgpr_dispatch_ptr 0
		.amdhsa_user_sgpr_queue_ptr 0
		.amdhsa_user_sgpr_kernarg_segment_ptr 1
		.amdhsa_user_sgpr_dispatch_id 0
		.amdhsa_user_sgpr_private_segment_size 0
		.amdhsa_wavefront_size32 1
		.amdhsa_uses_dynamic_stack 0
		.amdhsa_enable_private_segment 0
		.amdhsa_system_sgpr_workgroup_id_x 1
		.amdhsa_system_sgpr_workgroup_id_y 0
		.amdhsa_system_sgpr_workgroup_id_z 0
		.amdhsa_system_sgpr_workgroup_info 0
		.amdhsa_system_vgpr_workitem_id 0
		.amdhsa_next_free_vgpr 119
		.amdhsa_next_free_sgpr 43
		.amdhsa_reserve_vcc 1
		.amdhsa_float_round_mode_32 0
		.amdhsa_float_round_mode_16_64 0
		.amdhsa_float_denorm_mode_32 3
		.amdhsa_float_denorm_mode_16_64 3
		.amdhsa_fp16_overflow 0
		.amdhsa_workgroup_processor_mode 1
		.amdhsa_memory_ordered 1
		.amdhsa_forward_progress 0
		.amdhsa_round_robin_scheduling 0
		.amdhsa_exception_fp_ieee_invalid_op 0
		.amdhsa_exception_fp_denorm_src 0
		.amdhsa_exception_fp_ieee_div_zero 0
		.amdhsa_exception_fp_ieee_overflow 0
		.amdhsa_exception_fp_ieee_underflow 0
		.amdhsa_exception_fp_ieee_inexact 0
		.amdhsa_exception_int_div_zero 0
	.end_amdhsa_kernel
	.text
.Lfunc_end0:
	.size	fft_rtc_fwd_len952_factors_17_4_2_7_wgs_204_tpt_68_halfLds_half_op_CI_CI_sbrr_dirReg, .Lfunc_end0-fft_rtc_fwd_len952_factors_17_4_2_7_wgs_204_tpt_68_halfLds_half_op_CI_CI_sbrr_dirReg
                                        ; -- End function
	.section	.AMDGPU.csdata,"",@progbits
; Kernel info:
; codeLenInByte = 14620
; NumSgprs: 45
; NumVgprs: 119
; ScratchSize: 0
; MemoryBound: 0
; FloatMode: 240
; IeeeMode: 1
; LDSByteSize: 0 bytes/workgroup (compile time only)
; SGPRBlocks: 5
; VGPRBlocks: 14
; NumSGPRsForWavesPerEU: 45
; NumVGPRsForWavesPerEU: 119
; Occupancy: 12
; WaveLimiterHint : 1
; COMPUTE_PGM_RSRC2:SCRATCH_EN: 0
; COMPUTE_PGM_RSRC2:USER_SGPR: 2
; COMPUTE_PGM_RSRC2:TRAP_HANDLER: 0
; COMPUTE_PGM_RSRC2:TGID_X_EN: 1
; COMPUTE_PGM_RSRC2:TGID_Y_EN: 0
; COMPUTE_PGM_RSRC2:TGID_Z_EN: 0
; COMPUTE_PGM_RSRC2:TIDIG_COMP_CNT: 0
	.text
	.p2alignl 7, 3214868480
	.fill 96, 4, 3214868480
	.type	__hip_cuid_b226f9cb22b32ab8,@object ; @__hip_cuid_b226f9cb22b32ab8
	.section	.bss,"aw",@nobits
	.globl	__hip_cuid_b226f9cb22b32ab8
__hip_cuid_b226f9cb22b32ab8:
	.byte	0                               ; 0x0
	.size	__hip_cuid_b226f9cb22b32ab8, 1

	.ident	"AMD clang version 19.0.0git (https://github.com/RadeonOpenCompute/llvm-project roc-6.4.0 25133 c7fe45cf4b819c5991fe208aaa96edf142730f1d)"
	.section	".note.GNU-stack","",@progbits
	.addrsig
	.addrsig_sym __hip_cuid_b226f9cb22b32ab8
	.amdgpu_metadata
---
amdhsa.kernels:
  - .args:
      - .actual_access:  read_only
        .address_space:  global
        .offset:         0
        .size:           8
        .value_kind:     global_buffer
      - .offset:         8
        .size:           8
        .value_kind:     by_value
      - .actual_access:  read_only
        .address_space:  global
        .offset:         16
        .size:           8
        .value_kind:     global_buffer
      - .actual_access:  read_only
        .address_space:  global
        .offset:         24
        .size:           8
        .value_kind:     global_buffer
      - .actual_access:  read_only
        .address_space:  global
        .offset:         32
        .size:           8
        .value_kind:     global_buffer
      - .offset:         40
        .size:           8
        .value_kind:     by_value
      - .actual_access:  read_only
        .address_space:  global
        .offset:         48
        .size:           8
        .value_kind:     global_buffer
      - .actual_access:  read_only
        .address_space:  global
        .offset:         56
        .size:           8
        .value_kind:     global_buffer
      - .offset:         64
        .size:           4
        .value_kind:     by_value
      - .actual_access:  read_only
        .address_space:  global
        .offset:         72
        .size:           8
        .value_kind:     global_buffer
      - .actual_access:  read_only
        .address_space:  global
        .offset:         80
        .size:           8
        .value_kind:     global_buffer
      - .actual_access:  read_only
        .address_space:  global
        .offset:         88
        .size:           8
        .value_kind:     global_buffer
      - .actual_access:  write_only
        .address_space:  global
        .offset:         96
        .size:           8
        .value_kind:     global_buffer
    .group_segment_fixed_size: 0
    .kernarg_segment_align: 8
    .kernarg_segment_size: 104
    .language:       OpenCL C
    .language_version:
      - 2
      - 0
    .max_flat_workgroup_size: 204
    .name:           fft_rtc_fwd_len952_factors_17_4_2_7_wgs_204_tpt_68_halfLds_half_op_CI_CI_sbrr_dirReg
    .private_segment_fixed_size: 0
    .sgpr_count:     45
    .sgpr_spill_count: 0
    .symbol:         fft_rtc_fwd_len952_factors_17_4_2_7_wgs_204_tpt_68_halfLds_half_op_CI_CI_sbrr_dirReg.kd
    .uniform_work_group_size: 1
    .uses_dynamic_stack: false
    .vgpr_count:     119
    .vgpr_spill_count: 0
    .wavefront_size: 32
    .workgroup_processor_mode: 1
amdhsa.target:   amdgcn-amd-amdhsa--gfx1201
amdhsa.version:
  - 1
  - 2
...

	.end_amdgpu_metadata
